;; amdgpu-corpus repo=ROCm/rocFFT kind=compiled arch=gfx906 opt=O3
	.text
	.amdgcn_target "amdgcn-amd-amdhsa--gfx906"
	.amdhsa_code_object_version 6
	.protected	bluestein_single_fwd_len340_dim1_half_op_CI_CI ; -- Begin function bluestein_single_fwd_len340_dim1_half_op_CI_CI
	.globl	bluestein_single_fwd_len340_dim1_half_op_CI_CI
	.p2align	8
	.type	bluestein_single_fwd_len340_dim1_half_op_CI_CI,@function
bluestein_single_fwd_len340_dim1_half_op_CI_CI: ; @bluestein_single_fwd_len340_dim1_half_op_CI_CI
; %bb.0:
	v_mul_u32_u24_e32 v1, 0x788, v0
	s_load_dwordx4 s[0:3], s[4:5], 0x28
	v_lshrrev_b32_e32 v1, 16, v1
	v_mad_u64_u32 v[8:9], s[6:7], s6, 3, v[1:2]
	v_mov_b32_e32 v9, 0
	s_waitcnt lgkmcnt(0)
	v_cmp_gt_u64_e32 vcc, s[0:1], v[8:9]
	s_and_saveexec_b64 s[0:1], vcc
	s_cbranch_execz .LBB0_15
; %bb.1:
	s_mov_b32 s0, 0xaaaaaaab
	v_mul_hi_u32 v2, v8, s0
	v_mul_lo_u16_e32 v1, 34, v1
	s_load_dwordx2 s[6:7], s[4:5], 0x0
	s_load_dwordx2 s[12:13], s[4:5], 0x38
	v_sub_u16_e32 v25, v0, v1
	v_lshrrev_b32_e32 v0, 1, v2
	v_lshl_add_u32 v0, v0, 1, v0
	v_sub_u32_e32 v0, v8, v0
	v_mul_u32_u24_e32 v23, 0x154, v0
	v_cmp_gt_u16_e32 vcc, 20, v25
	v_lshlrev_b32_e32 v26, 2, v25
	v_lshlrev_b32_e32 v28, 2, v23
	s_and_saveexec_b64 s[14:15], vcc
	s_cbranch_execz .LBB0_3
; %bb.2:
	s_load_dwordx2 s[0:1], s[4:5], 0x18
	v_lshl_add_u32 v18, v25, 2, v28
	v_or_b32_e32 v36, 0x140, v25
	v_add_u32_e32 v19, v28, v26
	s_waitcnt lgkmcnt(0)
	s_load_dwordx4 s[8:11], s[0:1], 0x0
	s_waitcnt lgkmcnt(0)
	v_mad_u64_u32 v[0:1], s[0:1], s10, v8, 0
	v_mad_u64_u32 v[2:3], s[0:1], s8, v25, 0
	;; [unrolled: 1-line block ×4, first 2 shown]
	v_mov_b32_e32 v1, v4
	v_lshlrev_b64 v[0:1], 2, v[0:1]
	v_mov_b32_e32 v3, v5
	v_mov_b32_e32 v6, s3
	v_lshlrev_b64 v[2:3], 2, v[2:3]
	v_add_co_u32_e64 v5, s[0:1], s2, v0
	v_addc_co_u32_e64 v6, s[0:1], v6, v1, s[0:1]
	v_add_co_u32_e64 v0, s[0:1], v5, v2
	v_addc_co_u32_e64 v1, s[0:1], v6, v3, s[0:1]
	s_mul_i32 s0, s9, 0x50
	s_mul_hi_u32 s2, s8, 0x50
	s_add_i32 s2, s2, s0
	s_mul_i32 s3, s8, 0x50
	v_mov_b32_e32 v3, s2
	v_add_co_u32_e64 v2, s[0:1], s3, v0
	v_addc_co_u32_e64 v3, s[0:1], v1, v3, s[0:1]
	global_load_dword v7, v[0:1], off
	global_load_dword v9, v[2:3], off
	global_load_dword v10, v26, s[6:7]
	global_load_dword v11, v26, s[6:7] offset:80
	v_mov_b32_e32 v1, s2
	v_add_co_u32_e64 v0, s[0:1], s3, v2
	v_addc_co_u32_e64 v1, s[0:1], v3, v1, s[0:1]
	global_load_dword v12, v[0:1], off
	global_load_dword v13, v26, s[6:7] offset:160
	v_mov_b32_e32 v2, s2
	v_add_co_u32_e64 v0, s[0:1], s3, v0
	v_addc_co_u32_e64 v1, s[0:1], v1, v2, s[0:1]
	global_load_dword v14, v[0:1], off
	global_load_dword v15, v26, s[6:7] offset:240
	v_add_co_u32_e64 v0, s[0:1], s3, v0
	v_or_b32_e32 v4, 0xa0, v25
	v_addc_co_u32_e64 v1, s[0:1], v1, v2, s[0:1]
	v_mad_u64_u32 v[2:3], s[0:1], s8, v4, 0
	global_load_dword v16, v[0:1], off
	global_load_dword v17, v26, s[6:7] offset:320
	v_mov_b32_e32 v24, s2
	v_mad_u64_u32 v[3:4], s[0:1], s9, v4, v[3:4]
	v_add_co_u32_e64 v0, s[0:1], s3, v0
	v_addc_co_u32_e64 v1, s[0:1], v1, v24, s[0:1]
	global_load_dword v20, v26, s[6:7] offset:400
	global_load_dword v21, v26, s[6:7] offset:480
	;; [unrolled: 1-line block ×3, first 2 shown]
	v_mov_b32_e32 v27, s2
	global_load_dword v24, v[0:1], off
	v_add_co_u32_e64 v0, s[0:1], s3, v0
	v_addc_co_u32_e64 v1, s[0:1], v1, v27, s[0:1]
	global_load_dword v27, v[0:1], off
	v_mov_b32_e32 v29, s2
	v_add_co_u32_e64 v0, s[0:1], s3, v0
	v_addc_co_u32_e64 v1, s[0:1], v1, v29, s[0:1]
	v_lshlrev_b64 v[2:3], 2, v[2:3]
	v_mov_b32_e32 v39, s2
	v_mov_b32_e32 v41, s2
	s_waitcnt vmcnt(14)
	v_lshrrev_b32_e32 v4, 16, v7
	s_waitcnt vmcnt(13)
	v_lshrrev_b32_e32 v31, 16, v9
	s_waitcnt vmcnt(12)
	v_mul_f16_sdwa v30, v10, v7 dst_sel:DWORD dst_unused:UNUSED_PAD src0_sel:WORD_1 src1_sel:DWORD
	v_fma_f16 v30, v10, v4, -v30
	v_mul_f16_sdwa v4, v10, v4 dst_sel:DWORD dst_unused:UNUSED_PAD src0_sel:WORD_1 src1_sel:DWORD
	s_waitcnt vmcnt(11)
	v_mul_f16_sdwa v32, v11, v9 dst_sel:DWORD dst_unused:UNUSED_PAD src0_sel:WORD_1 src1_sel:DWORD
	v_fma_f16 v4, v10, v7, v4
	v_fma_f16 v7, v11, v31, -v32
	v_mul_f16_sdwa v10, v11, v31 dst_sel:DWORD dst_unused:UNUSED_PAD src0_sel:WORD_1 src1_sel:DWORD
	s_waitcnt vmcnt(10)
	v_lshrrev_b32_e32 v31, 16, v12
	s_waitcnt vmcnt(9)
	v_mul_f16_sdwa v32, v13, v12 dst_sel:DWORD dst_unused:UNUSED_PAD src0_sel:WORD_1 src1_sel:DWORD
	v_fma_f16 v9, v11, v9, v10
	v_pack_b32_f16 v4, v4, v30
	v_mul_f16_sdwa v10, v13, v31 dst_sel:DWORD dst_unused:UNUSED_PAD src0_sel:WORD_1 src1_sel:DWORD
	v_fma_f16 v11, v13, v31, -v32
	s_waitcnt vmcnt(8)
	v_lshrrev_b32_e32 v30, 16, v14
	ds_write_b32 v18, v4
	v_fma_f16 v4, v13, v12, v10
	s_waitcnt vmcnt(7)
	v_mul_f16_sdwa v31, v15, v14 dst_sel:DWORD dst_unused:UNUSED_PAD src0_sel:WORD_1 src1_sel:DWORD
	v_pack_b32_f16 v7, v9, v7
	v_mul_f16_sdwa v9, v15, v30 dst_sel:DWORD dst_unused:UNUSED_PAD src0_sel:WORD_1 src1_sel:DWORD
	v_pack_b32_f16 v11, v4, v11
	v_mov_b32_e32 v4, 0xa0
	v_fma_f16 v10, v15, v30, -v31
	v_fma_f16 v9, v15, v14, v9
	global_load_dword v15, v[0:1], off
	v_mad_u64_u32 v[0:1], s[0:1], s8, v4, v[0:1]
	v_add_co_u32_e64 v2, s[0:1], v5, v2
	v_addc_co_u32_e64 v3, s[0:1], v6, v3, s[0:1]
	global_load_dword v18, v[2:3], off
	s_mul_i32 s0, s9, 0xa0
	v_add_u32_e32 v1, s0, v1
	global_load_dword v29, v[0:1], off
	global_load_dword v30, v26, s[6:7] offset:640
	global_load_dword v31, v26, s[6:7] offset:720
	v_mov_b32_e32 v2, s2
	v_add_co_u32_e64 v0, s[0:1], s3, v0
	v_addc_co_u32_e64 v1, s[0:1], v1, v2, s[0:1]
	global_load_dword v32, v[0:1], off
	v_add_co_u32_e64 v0, s[0:1], s3, v0
	v_addc_co_u32_e64 v1, s[0:1], v1, v2, s[0:1]
	global_load_dword v33, v[0:1], off
	global_load_dword v34, v26, s[6:7] offset:800
	v_add_co_u32_e64 v0, s[0:1], s3, v0
	global_load_dword v37, v26, s[6:7] offset:880
	global_load_dword v38, v26, s[6:7] offset:960
	v_addc_co_u32_e64 v1, s[0:1], v1, v2, s[0:1]
	global_load_dword v35, v[0:1], off
	v_mad_u64_u32 v[2:3], s[0:1], s8, v36, 0
	v_mov_b32_e32 v4, s2
	v_add_co_u32_e64 v0, s[0:1], s3, v0
	v_addc_co_u32_e64 v1, s[0:1], v1, v4, s[0:1]
	v_mad_u64_u32 v[3:4], s[0:1], s9, v36, v[3:4]
	global_load_dword v4, v[0:1], off
	global_load_dword v36, v26, s[6:7] offset:1040
	v_add_co_u32_e64 v0, s[0:1], s3, v0
	v_addc_co_u32_e64 v1, s[0:1], v1, v39, s[0:1]
	global_load_dword v39, v[0:1], off
	global_load_dword v40, v26, s[6:7] offset:1120
	v_add_co_u32_e64 v0, s[0:1], s3, v0
	v_lshlrev_b64 v[2:3], 2, v[2:3]
	v_addc_co_u32_e64 v1, s[0:1], v1, v41, s[0:1]
	global_load_dword v41, v[0:1], off
	global_load_dword v42, v26, s[6:7] offset:1200
	v_add_co_u32_e64 v0, s[0:1], v5, v2
	v_addc_co_u32_e64 v1, s[0:1], v6, v3, s[0:1]
	global_load_dword v2, v[0:1], off
	global_load_dword v3, v26, s[6:7] offset:1280
	s_waitcnt vmcnt(25)
	v_lshrrev_b32_e32 v12, 16, v16
	s_waitcnt vmcnt(24)
	v_mul_f16_sdwa v13, v17, v16 dst_sel:DWORD dst_unused:UNUSED_PAD src0_sel:WORD_1 src1_sel:DWORD
	v_mul_f16_sdwa v14, v17, v12 dst_sel:DWORD dst_unused:UNUSED_PAD src0_sel:WORD_1 src1_sel:DWORD
	v_fma_f16 v0, v17, v12, -v13
	ds_write2_b32 v19, v7, v11 offset0:20 offset1:40
	v_fma_f16 v7, v17, v16, v14
	s_waitcnt vmcnt(20)
	v_lshrrev_b32_e32 v1, 16, v24
	v_mul_f16_sdwa v5, v20, v24 dst_sel:DWORD dst_unused:UNUSED_PAD src0_sel:WORD_1 src1_sel:DWORD
	v_pack_b32_f16 v6, v9, v10
	v_pack_b32_f16 v0, v7, v0
	v_mul_f16_sdwa v9, v20, v1 dst_sel:DWORD dst_unused:UNUSED_PAD src0_sel:WORD_1 src1_sel:DWORD
	ds_write2_b32 v19, v6, v0 offset0:60 offset1:80
	v_fma_f16 v0, v20, v1, -v5
	s_waitcnt vmcnt(19)
	v_lshrrev_b32_e32 v1, 16, v27
	v_mul_f16_sdwa v5, v21, v1 dst_sel:DWORD dst_unused:UNUSED_PAD src0_sel:WORD_1 src1_sel:DWORD
	v_mul_f16_sdwa v6, v21, v27 dst_sel:DWORD dst_unused:UNUSED_PAD src0_sel:WORD_1 src1_sel:DWORD
	v_fma_f16 v7, v20, v24, v9
	v_fma_f16 v5, v21, v27, v5
	v_fma_f16 v1, v21, v1, -v6
	v_pack_b32_f16 v0, v7, v0
	v_pack_b32_f16 v1, v5, v1
	ds_write2_b32 v19, v0, v1 offset0:100 offset1:120
	s_waitcnt vmcnt(18)
	v_lshrrev_b32_e32 v0, 16, v15
	v_mul_f16_sdwa v1, v22, v0 dst_sel:DWORD dst_unused:UNUSED_PAD src0_sel:WORD_1 src1_sel:DWORD
	v_mul_f16_sdwa v5, v22, v15 dst_sel:DWORD dst_unused:UNUSED_PAD src0_sel:WORD_1 src1_sel:DWORD
	v_fma_f16 v1, v22, v15, v1
	v_fma_f16 v0, v22, v0, -v5
	v_pack_b32_f16 v0, v1, v0
	s_waitcnt vmcnt(17)
	v_lshrrev_b32_e32 v1, 16, v18
	s_waitcnt vmcnt(15)
	v_mul_f16_sdwa v5, v30, v1 dst_sel:DWORD dst_unused:UNUSED_PAD src0_sel:WORD_1 src1_sel:DWORD
	v_mul_f16_sdwa v6, v30, v18 dst_sel:DWORD dst_unused:UNUSED_PAD src0_sel:WORD_1 src1_sel:DWORD
	v_fma_f16 v5, v30, v18, v5
	v_fma_f16 v1, v30, v1, -v6
	v_pack_b32_f16 v1, v5, v1
	ds_write2_b32 v19, v0, v1 offset0:140 offset1:160
	v_lshrrev_b32_e32 v0, 16, v29
	s_waitcnt vmcnt(14)
	v_mul_f16_sdwa v1, v31, v0 dst_sel:DWORD dst_unused:UNUSED_PAD src0_sel:WORD_1 src1_sel:DWORD
	v_mul_f16_sdwa v5, v31, v29 dst_sel:DWORD dst_unused:UNUSED_PAD src0_sel:WORD_1 src1_sel:DWORD
	v_fma_f16 v1, v31, v29, v1
	v_fma_f16 v0, v31, v0, -v5
	v_pack_b32_f16 v0, v1, v0
	s_waitcnt vmcnt(13)
	v_lshrrev_b32_e32 v1, 16, v32
	s_waitcnt vmcnt(11)
	v_mul_f16_sdwa v5, v34, v1 dst_sel:DWORD dst_unused:UNUSED_PAD src0_sel:WORD_1 src1_sel:DWORD
	v_mul_f16_sdwa v6, v34, v32 dst_sel:DWORD dst_unused:UNUSED_PAD src0_sel:WORD_1 src1_sel:DWORD
	v_fma_f16 v5, v34, v32, v5
	v_fma_f16 v1, v34, v1, -v6
	v_pack_b32_f16 v1, v5, v1
	ds_write2_b32 v19, v0, v1 offset0:180 offset1:200
	v_lshrrev_b32_e32 v0, 16, v33
	s_waitcnt vmcnt(10)
	v_mul_f16_sdwa v1, v37, v0 dst_sel:DWORD dst_unused:UNUSED_PAD src0_sel:WORD_1 src1_sel:DWORD
	v_mul_f16_sdwa v5, v37, v33 dst_sel:DWORD dst_unused:UNUSED_PAD src0_sel:WORD_1 src1_sel:DWORD
	v_fma_f16 v1, v37, v33, v1
	v_fma_f16 v0, v37, v0, -v5
	v_pack_b32_f16 v0, v1, v0
	s_waitcnt vmcnt(8)
	v_lshrrev_b32_e32 v1, 16, v35
	v_mul_f16_sdwa v5, v38, v1 dst_sel:DWORD dst_unused:UNUSED_PAD src0_sel:WORD_1 src1_sel:DWORD
	v_mul_f16_sdwa v6, v38, v35 dst_sel:DWORD dst_unused:UNUSED_PAD src0_sel:WORD_1 src1_sel:DWORD
	v_fma_f16 v5, v38, v35, v5
	v_fma_f16 v1, v38, v1, -v6
	v_pack_b32_f16 v1, v5, v1
	ds_write2_b32 v19, v0, v1 offset0:220 offset1:240
	s_waitcnt vmcnt(7)
	v_lshrrev_b32_e32 v0, 16, v4
	s_waitcnt vmcnt(6)
	v_mul_f16_sdwa v1, v36, v0 dst_sel:DWORD dst_unused:UNUSED_PAD src0_sel:WORD_1 src1_sel:DWORD
	v_fma_f16 v1, v36, v4, v1
	v_mul_f16_sdwa v4, v36, v4 dst_sel:DWORD dst_unused:UNUSED_PAD src0_sel:WORD_1 src1_sel:DWORD
	v_fma_f16 v0, v36, v0, -v4
	v_pack_b32_f16 v0, v1, v0
	s_waitcnt vmcnt(5)
	v_lshrrev_b32_e32 v1, 16, v39
	s_waitcnt vmcnt(4)
	v_mul_f16_sdwa v4, v40, v1 dst_sel:DWORD dst_unused:UNUSED_PAD src0_sel:WORD_1 src1_sel:DWORD
	v_mul_f16_sdwa v5, v40, v39 dst_sel:DWORD dst_unused:UNUSED_PAD src0_sel:WORD_1 src1_sel:DWORD
	v_fma_f16 v4, v40, v39, v4
	v_fma_f16 v1, v40, v1, -v5
	v_pack_b32_f16 v1, v4, v1
	v_add_u32_e32 v4, 0x400, v19
	ds_write2_b32 v4, v0, v1 offset0:4 offset1:24
	s_waitcnt vmcnt(3)
	v_lshrrev_b32_e32 v0, 16, v41
	s_waitcnt vmcnt(2)
	v_mul_f16_sdwa v1, v42, v0 dst_sel:DWORD dst_unused:UNUSED_PAD src0_sel:WORD_1 src1_sel:DWORD
	v_mul_f16_sdwa v5, v42, v41 dst_sel:DWORD dst_unused:UNUSED_PAD src0_sel:WORD_1 src1_sel:DWORD
	v_fma_f16 v1, v42, v41, v1
	v_fma_f16 v0, v42, v0, -v5
	v_pack_b32_f16 v0, v1, v0
	s_waitcnt vmcnt(1)
	v_lshrrev_b32_e32 v1, 16, v2
	s_waitcnt vmcnt(0)
	v_mul_f16_sdwa v5, v3, v1 dst_sel:DWORD dst_unused:UNUSED_PAD src0_sel:WORD_1 src1_sel:DWORD
	v_fma_f16 v5, v3, v2, v5
	v_mul_f16_sdwa v2, v3, v2 dst_sel:DWORD dst_unused:UNUSED_PAD src0_sel:WORD_1 src1_sel:DWORD
	v_fma_f16 v1, v3, v1, -v2
	v_pack_b32_f16 v1, v5, v1
	ds_write2_b32 v4, v0, v1 offset0:44 offset1:64
.LBB0_3:
	s_or_b64 exec, exec, s[14:15]
	s_load_dwordx2 s[0:1], s[4:5], 0x20
	s_load_dwordx2 s[2:3], s[4:5], 0x8
	v_mov_b32_e32 v0, 0
	s_waitcnt lgkmcnt(0)
	s_barrier
	s_waitcnt lgkmcnt(0)
                                        ; implicit-def: $vgpr24
                                        ; implicit-def: $vgpr7
                                        ; implicit-def: $vgpr5
                                        ; implicit-def: $vgpr3
                                        ; implicit-def: $vgpr18
                                        ; implicit-def: $vgpr20
                                        ; implicit-def: $vgpr22
                                        ; implicit-def: $vgpr15
                                        ; implicit-def: $vgpr56
	s_and_saveexec_b64 s[4:5], vcc
	s_cbranch_execz .LBB0_5
; %bb.4:
	v_lshl_add_u32 v9, v23, 2, v26
	v_add_u32_e32 v4, 0x200, v9
	v_add_u32_e32 v6, 0x400, v9
	ds_read2_b32 v[0:1], v9 offset1:20
	ds_read2_b32 v[14:15], v9 offset0:40 offset1:60
	ds_read2_b32 v[21:22], v9 offset0:80 offset1:100
	;; [unrolled: 1-line block ×7, first 2 shown]
	ds_read_b32 v24, v9 offset:1280
	s_waitcnt lgkmcnt(7)
	v_alignbit_b32 v56, v14, v14, 16
.LBB0_5:
	s_or_b64 exec, exec, s[4:5]
	s_waitcnt lgkmcnt(0)
	v_pk_add_f16 v37, v1, v24 neg_lo:[0,1] neg_hi:[0,1]
	s_mov_b32 s5, 0xbb29
	v_pk_add_f16 v27, v24, v1
	s_movk_i32 s8, 0x3722
	v_mul_f16_sdwa v41, v37, s5 dst_sel:DWORD dst_unused:UNUSED_PAD src0_sel:WORD_1 src1_sel:DWORD
	s_mov_b32 s11, 0xba62
	v_pk_add_f16 v38, v7, v56 op_sel:[1,0] op_sel_hi:[0,1]
	v_pk_add_f16 v39, v56, v7 op_sel:[1,0] op_sel_hi:[0,1] neg_lo:[0,1] neg_hi:[0,1]
	v_fma_f16 v9, v27, s8, v41
	s_mov_b32 s4, 0xbbf7
	s_mov_b32 s10, 0xb8d2
	v_lshrrev_b32_e32 v64, 16, v38
	v_mul_f16_sdwa v45, v39, s11 dst_sel:DWORD dst_unused:UNUSED_PAD src0_sel:WORD_1 src1_sel:DWORD
	v_add_f16_e32 v9, v9, v0
	s_movk_i32 s9, 0x2de8
	v_fma_f16 v10, v64, s10, v45
	v_mul_f16_sdwa v47, v37, s4 dst_sel:DWORD dst_unused:UNUSED_PAD src0_sel:WORD_1 src1_sel:DWORD
	s_mov_b32 s15, 0xb1e1
	v_add_f16_e32 v9, v10, v9
	v_fma_f16 v10, v27, s9, v47
	s_mov_b32 s14, 0xbbdd
	v_mul_f16_sdwa v48, v39, s15 dst_sel:DWORD dst_unused:UNUSED_PAD src0_sel:WORD_1 src1_sel:DWORD
	s_movk_i32 s16, 0x31e1
	v_pk_add_f16 v42, v15, v6 neg_lo:[0,1] neg_hi:[0,1]
	v_add_f16_e32 v10, v10, v0
	v_fma_f16 v11, v64, s14, v48
	v_pk_add_f16 v40, v6, v15
	v_mul_f16_sdwa v50, v42, s16 dst_sel:DWORD dst_unused:UNUSED_PAD src0_sel:WORD_1 src1_sel:DWORD
	s_movk_i32 s24, 0x3bb2
	v_add_f16_e32 v10, v11, v10
	v_fma_f16 v11, v40, s14, v50
	s_mov_b32 s16, 0xb461
	v_mul_f16_sdwa v53, v42, s24 dst_sel:DWORD dst_unused:UNUSED_PAD src0_sel:WORD_1 src1_sel:DWORD
	v_pk_add_f16 v44, v21, v5 neg_lo:[0,1] neg_hi:[0,1]
	v_add_f16_e32 v9, v11, v9
	v_fma_f16 v11, v40, s16, v53
	v_pk_add_f16 v43, v5, v21
	v_mul_f16_sdwa v54, v44, s24 dst_sel:DWORD dst_unused:UNUSED_PAD src0_sel:WORD_1 src1_sel:DWORD
	s_movk_i32 s19, 0x35c8
	v_add_f16_e32 v10, v11, v10
	v_fma_f16 v11, v43, s16, v54
	s_movk_i32 s17, 0x3b76
	v_mul_f16_sdwa v58, v44, s19 dst_sel:DWORD dst_unused:UNUSED_PAD src0_sel:WORD_1 src1_sel:DWORD
	s_movk_i32 s20, 0x3964
	v_pk_add_f16 v49, v22, v4 neg_lo:[0,1] neg_hi:[0,1]
	v_add_f16_e32 v9, v11, v9
	v_fma_f16 v11, v43, s17, v58
	s_movk_i32 s18, 0x39e9
	v_pk_add_f16 v46, v4, v22
	v_mul_f16_sdwa v59, v49, s20 dst_sel:DWORD dst_unused:UNUSED_PAD src0_sel:WORD_1 src1_sel:DWORD
	v_add_f16_e32 v10, v11, v10
	v_fma_f16 v11, v46, s18, v59
	v_mul_f16_sdwa v62, v49, s5 dst_sel:DWORD dst_unused:UNUSED_PAD src0_sel:WORD_1 src1_sel:DWORD
	s_mov_b32 s26, 0xb5c8
	v_pk_add_f16 v52, v19, v3 neg_lo:[0,1] neg_hi:[0,1]
	v_add_f16_e32 v9, v11, v9
	v_fma_f16 v11, v46, s8, v62
	v_pk_add_f16 v51, v3, v19
	v_mul_f16_sdwa v63, v52, s26 dst_sel:DWORD dst_unused:UNUSED_PAD src0_sel:WORD_1 src1_sel:DWORD
	s_mov_b32 s22, 0xb836
	v_add_f16_e32 v10, v11, v10
	v_fma_f16 v11, v51, s17, v63
	s_mov_b32 s21, 0xbacd
	v_mul_f16_sdwa v65, v52, s22 dst_sel:DWORD dst_unused:UNUSED_PAD src0_sel:WORD_1 src1_sel:DWORD
	v_pk_add_f16 v57, v20, v2 neg_lo:[0,1] neg_hi:[0,1]
	v_add_f16_e32 v9, v11, v9
	v_fma_f16 v11, v51, s21, v65
	v_pk_add_f16 v55, v2, v20
	v_mul_f16_sdwa v66, v57, s4 dst_sel:DWORD dst_unused:UNUSED_PAD src0_sel:WORD_1 src1_sel:DWORD
	s_movk_i32 s27, 0x3a62
	v_add_f16_e32 v10, v11, v10
	v_fma_f16 v11, v55, s9, v66
	v_mul_f16_sdwa v67, v57, s27 dst_sel:DWORD dst_unused:UNUSED_PAD src0_sel:WORD_1 src1_sel:DWORD
	v_pk_add_f16 v61, v17, v18 neg_lo:[0,1] neg_hi:[0,1]
	v_add_f16_e32 v9, v11, v9
	v_fma_f16 v11, v55, s10, v67
	v_pk_add_f16 v60, v18, v17
	v_mul_f16_sdwa v68, v61, s22 dst_sel:DWORD dst_unused:UNUSED_PAD src0_sel:WORD_1 src1_sel:DWORD
	v_add_f16_e32 v11, v11, v10
	v_fma_f16 v10, v60, s21, v68
	v_mul_f16_sdwa v69, v61, s20 dst_sel:DWORD dst_unused:UNUSED_PAD src0_sel:WORD_1 src1_sel:DWORD
	s_mov_b32 s23, 0xbbb2
	v_add_f16_e32 v10, v10, v9
	v_fma_f16 v9, v60, s18, v69
	v_mul_f16_sdwa v75, v37, s23 dst_sel:DWORD dst_unused:UNUSED_PAD src0_sel:WORD_1 src1_sel:DWORD
	s_movk_i32 s25, 0x3836
	v_add_f16_e32 v9, v9, v11
	v_fma_f16 v11, v27, s16, v75
	v_mul_f16_sdwa v76, v39, s25 dst_sel:DWORD dst_unused:UNUSED_PAD src0_sel:WORD_1 src1_sel:DWORD
	v_add_f16_e32 v11, v11, v0
	v_fma_f16 v12, v64, s21, v76
	v_mul_f16_sdwa v87, v37, s11 dst_sel:DWORD dst_unused:UNUSED_PAD src0_sel:WORD_1 src1_sel:DWORD
	;; [unrolled: 3-line block ×8, first 2 shown]
	s_movk_i32 s24, 0x3bf7
	v_add_f16_e32 v12, v13, v12
	v_fma_f16 v13, v46, s14, v79
	v_mul_f16_sdwa v93, v49, s24 dst_sel:DWORD dst_unused:UNUSED_PAD src0_sel:WORD_1 src1_sel:DWORD
	v_add_f16_e32 v11, v13, v11
	v_fma_f16 v13, v46, s9, v93
	v_mul_f16_sdwa v81, v52, s24 dst_sel:DWORD dst_unused:UNUSED_PAD src0_sel:WORD_1 src1_sel:DWORD
	s_mov_b32 s28, 0xb964
	v_add_f16_e32 v12, v13, v12
	v_fma_f16 v13, v51, s9, v81
	v_mul_f16_sdwa v94, v52, s28 dst_sel:DWORD dst_unused:UNUSED_PAD src0_sel:WORD_1 src1_sel:DWORD
	v_add_f16_e32 v11, v13, v11
	v_fma_f16 v13, v51, s18, v94
	v_mul_f16_sdwa v85, v57, s26 dst_sel:DWORD dst_unused:UNUSED_PAD src0_sel:WORD_1 src1_sel:DWORD
	;; [unrolled: 3-line block ×3, first 2 shown]
	v_add_f16_e32 v11, v13, v11
	v_fma_f16 v13, v55, s14, v98
	s_movk_i32 s25, 0x3b29
	v_mul_f16_sdwa v86, v61, s11 dst_sel:DWORD dst_unused:UNUSED_PAD src0_sel:WORD_1 src1_sel:DWORD
	v_add_f16_e32 v13, v13, v12
	v_fma_f16 v12, v60, s10, v86
	v_mul_f16_sdwa v100, v61, s25 dst_sel:DWORD dst_unused:UNUSED_PAD src0_sel:WORD_1 src1_sel:DWORD
	v_add_f16_e32 v12, v12, v11
	v_fma_f16 v11, v60, s8, v100
	;; [unrolled: 3-line block ×4, first 2 shown]
	v_lshrrev_b32_e32 v155, 16, v27
	v_mul_f16_e32 v72, 0xb964, v37
	v_add_f16_e32 v13, v14, v13
	v_fma_f16 v14, v155, s18, -v72
	v_mul_f16_e32 v73, 0xbbf7, v39
	v_add_f16_sdwa v14, v14, v0 dst_sel:DWORD dst_unused:UNUSED_PAD src0_sel:DWORD src1_sel:WORD_1
	v_fma_f16 v16, v38, s9, -v73
	v_mul_f16_e32 v82, 0xbb29, v37
	v_add_f16_e32 v14, v16, v14
	v_fma_f16 v16, v155, s8, -v82
	v_mul_f16_e32 v83, 0xba62, v39
	v_add_f16_sdwa v16, v16, v0 dst_sel:DWORD dst_unused:UNUSED_PAD src0_sel:DWORD src1_sel:WORD_1
	v_fma_f16 v29, v38, s10, -v83
	;; [unrolled: 6-line block ×5, first 2 shown]
	v_mul_f16_sdwa v121, v37, s22 dst_sel:DWORD dst_unused:UNUSED_PAD src0_sel:WORD_1 src1_sel:DWORD
	v_add_f16_e32 v31, v32, v31
	v_fma_f16 v32, v27, s21, v121
	v_mul_f16_sdwa v123, v39, s25 dst_sel:DWORD dst_unused:UNUSED_PAD src0_sel:WORD_1 src1_sel:DWORD
	v_add_f16_e32 v32, v32, v0
	v_fma_f16 v33, v64, s8, v123
	v_mul_f16_e32 v136, 0xb836, v37
	v_add_f16_e32 v32, v33, v32
	v_fma_f16 v33, v155, s21, -v136
	v_mul_f16_e32 v137, 0x3b29, v39
	v_add_f16_sdwa v33, v33, v0 dst_sel:DWORD dst_unused:UNUSED_PAD src0_sel:DWORD src1_sel:WORD_1
	v_fma_f16 v34, v38, s8, -v137
	v_mul_f16_sdwa v74, v42, s5 dst_sel:DWORD dst_unused:UNUSED_PAD src0_sel:WORD_1 src1_sel:DWORD
	v_add_f16_e32 v33, v34, v33
	v_fma_f16 v34, v40, s8, v74
	v_lshrrev_b32_e32 v160, 16, v40
	v_mul_f16_e32 v84, 0xba62, v42
	v_add_f16_e32 v13, v34, v13
	v_fma_f16 v34, v160, s10, -v84
	v_mul_f16_e32 v97, 0x31e1, v42
	v_add_f16_e32 v14, v34, v14
	v_fma_f16 v34, v160, s14, -v97
	v_mul_f16_e32 v105, 0x3bb2, v42
	v_add_f16_e32 v16, v34, v16
	v_fma_f16 v34, v160, s16, -v105
	v_mul_f16_e32 v113, 0x3964, v42
	v_add_f16_e32 v29, v34, v29
	v_fma_f16 v34, v160, s18, -v113
	v_mul_f16_e32 v128, 0xb5c8, v42
	v_add_f16_e32 v30, v34, v30
	v_fma_f16 v34, v160, s17, -v128
	v_mul_f16_sdwa v133, v42, s4 dst_sel:DWORD dst_unused:UNUSED_PAD src0_sel:WORD_1 src1_sel:DWORD
	v_add_f16_e32 v31, v34, v31
	v_fma_f16 v34, v40, s9, v133
	v_mul_f16_e32 v148, 0xbbf7, v42
	v_add_f16_e32 v32, v34, v32
	v_fma_f16 v34, v160, s9, -v148
	v_mul_f16_sdwa v80, v44, s4 dst_sel:DWORD dst_unused:UNUSED_PAD src0_sel:WORD_1 src1_sel:DWORD
	v_add_f16_e32 v33, v34, v33
	v_fma_f16 v34, v43, s9, v80
	v_lshrrev_b32_e32 v162, 16, v43
	v_mul_f16_e32 v92, 0xb1e1, v44
	v_add_f16_e32 v13, v34, v13
	v_fma_f16 v34, v162, s14, -v92
	v_mul_f16_e32 v102, 0x3bb2, v44
	v_add_f16_e32 v14, v34, v14
	v_fma_f16 v34, v162, s16, -v102
	v_mul_f16_e32 v110, 0x35c8, v44
	v_add_f16_e32 v16, v34, v16
	v_fma_f16 v34, v162, s17, -v110
	v_mul_f16_e32 v119, 0xbb29, v44
	v_add_f16_e32 v29, v34, v29
	v_fma_f16 v34, v162, s8, -v119
	v_mul_f16_e32 v135, 0xb836, v44
	v_add_f16_e32 v30, v34, v30
	v_fma_f16 v34, v162, s21, -v135
	v_mul_f16_sdwa v147, v44, s27 dst_sel:DWORD dst_unused:UNUSED_PAD src0_sel:WORD_1 src1_sel:DWORD
	v_add_f16_e32 v31, v34, v31
	v_fma_f16 v34, v43, s10, v147
	v_mul_f16_e32 v152, 0x3a62, v44
	v_add_f16_e32 v32, v34, v32
	;; [unrolled: 25-line block ×4, first 2 shown]
	v_fma_f16 v34, v167, s14, -v161
	v_mul_f16_sdwa v103, v57, s22 dst_sel:DWORD dst_unused:UNUSED_PAD src0_sel:WORD_1 src1_sel:DWORD
	v_add_f16_e32 v33, v34, v33
	v_fma_f16 v34, v55, s21, v103
	v_lshrrev_b32_e32 v168, 16, v55
	v_mul_f16_e32 v109, 0x3b29, v57
	v_add_f16_e32 v13, v34, v13
	v_fma_f16 v34, v168, s8, -v109
	v_mul_f16_e32 v117, 0xbbf7, v57
	v_add_f16_e32 v34, v34, v14
	v_fma_f16 v14, v168, s9, -v117
	;; [unrolled: 3-line block ×5, first 2 shown]
	v_lshrrev_b32_e32 v170, 16, v60
	v_mul_f16_e32 v150, 0xb836, v61
	v_add_f16_e32 v36, v14, v31
	v_mul_f16_sdwa v163, v57, s20 dst_sel:DWORD dst_unused:UNUSED_PAD src0_sel:WORD_1 src1_sel:DWORD
	v_fma_f16 v31, v170, s21, -v150
	v_mul_f16_e32 v156, 0x3964, v61
	v_fma_f16 v14, v55, s18, v163
	v_mul_f16_e32 v166, 0x3964, v57
	v_add_f16_e32 v31, v31, v16
	v_fma_f16 v16, v170, s18, -v156
	v_mul_f16_e32 v164, 0xba62, v61
	v_add_f16_e32 v173, v14, v32
	v_fma_f16 v14, v168, s18, -v166
	v_add_f16_e32 v32, v16, v29
	v_fma_f16 v16, v170, s10, -v164
	v_mul_f16_e32 v169, 0x3b29, v61
	v_add_f16_e32 v138, v14, v33
	s_mov_b32 s4, 0x3b7639e9
	v_mul_f16_e32 v132, 0x35c8, v61
	v_add_f16_e32 v33, v16, v35
	v_fma_f16 v16, v170, s8, -v169
	v_mul_f16_e32 v171, 0xbbb2, v61
	s_mov_b32 s5, 0xb964b5c8
	s_mov_b32 s27, 0xbbf7b964
	v_pk_mul_f16 v139, v27, s4
	v_fma_f16 v30, v170, s17, -v132
	v_add_f16_e32 v35, v16, v36
	v_fma_f16 v16, v170, s16, -v171
	s_mov_b32 s26, 0x2de839e9
	s_mov_b32 s28, 0x3722b8d2
	v_mul_f16_sdwa v111, v61, s15 dst_sel:DWORD dst_unused:UNUSED_PAD src0_sel:WORD_1 src1_sel:DWORD
	v_pk_mul_f16 v140, v39, s27
	v_add_f16_e32 v30, v30, v34
	v_add_f16_e32 v34, v16, v138
	v_pk_fma_f16 v138, v37, s5, v139 op_sel:[0,0,1] op_sel_hi:[1,1,0] neg_lo:[1,0,0] neg_hi:[1,0,0]
	s_mov_b32 s29, 0xba62bb29
	s_mov_b32 s30, 0x2de8bbdd
	v_fma_f16 v14, v60, s14, v111
	v_pk_fma_f16 v118, v37, s5, v139 op_sel:[0,0,1] op_sel_hi:[1,1,0]
	v_pk_mul_f16 v141, v40, s28
	v_pk_fma_f16 v139, v38, s26, v140 neg_lo:[0,0,1] neg_hi:[0,0,1]
	v_add_f16_sdwa v16, v138, v0 dst_sel:DWORD dst_unused:UNUSED_PAD src0_sel:DWORD src1_sel:WORD_1
	s_mov_b32 s31, 0xb1e1bbf7
	s_mov_b32 s33, 0xb461bacd
	v_add_f16_e32 v14, v14, v13
	v_pk_fma_f16 v120, v38, s26, v140
	v_add_f16_sdwa v13, v118, v0 dst_sel:DWORD dst_unused:UNUSED_PAD src0_sel:WORD_1 src1_sel:DWORD
	v_pk_mul_f16 v142, v43, s30
	v_pk_fma_f16 v140, v42, s29, v141 op_sel:[0,0,1] op_sel_hi:[1,1,0] neg_lo:[1,0,0] neg_hi:[1,0,0]
	v_add_f16_e32 v16, v139, v16
	s_mov_b32 s34, 0x3836bbb2
	s_mov_b32 s35, 0xb8d2b461
	v_add_f16_sdwa v13, v120, v13 dst_sel:DWORD dst_unused:UNUSED_PAD src0_sel:WORD_1 src1_sel:DWORD
	v_pk_fma_f16 v122, v42, s29, v141 op_sel:[0,0,1] op_sel_hi:[1,1,0]
	v_pk_mul_f16 v143, v46, s33
	v_pk_fma_f16 v141, v44, s31, v142 op_sel:[0,0,1] op_sel_hi:[1,1,0] neg_lo:[1,0,0] neg_hi:[1,0,0]
	v_add_f16_e32 v16, v140, v16
	s_mov_b32 s36, 0x3bb2ba62
	s_mov_b32 s37, 0xbacd3722
	v_add_f16_sdwa v13, v122, v13 dst_sel:DWORD dst_unused:UNUSED_PAD src0_sel:WORD_1 src1_sel:DWORD
	v_pk_fma_f16 v124, v44, s31, v142 op_sel:[0,0,1] op_sel_hi:[1,1,0]
	;; [unrolled: 7-line block ×3, first 2 shown]
	v_pk_mul_f16 v145, v55, s37
	v_pk_fma_f16 v143, v52, s36, v144 op_sel:[0,0,1] op_sel_hi:[1,1,0] neg_lo:[1,0,0] neg_hi:[1,0,0]
	v_add_f16_e32 v16, v142, v16
	s_mov_b32 s40, 0x35c8b1e1
	v_add_f16_sdwa v13, v125, v13 dst_sel:DWORD dst_unused:UNUSED_PAD src0_sel:WORD_1 src1_sel:DWORD
	v_pk_fma_f16 v126, v52, s36, v144 op_sel:[0,0,1] op_sel_hi:[1,1,0]
	v_pk_mul_f16 v172, v60, s39
	v_pk_fma_f16 v144, v57, s38, v145 op_sel:[0,0,1] op_sel_hi:[1,1,0] neg_lo:[1,0,0] neg_hi:[1,0,0]
	v_add_f16_e32 v16, v143, v16
	v_add_f16_sdwa v13, v126, v13 dst_sel:DWORD dst_unused:UNUSED_PAD src0_sel:WORD_1 src1_sel:DWORD
	v_pk_fma_f16 v129, v57, s38, v145 op_sel:[0,0,1] op_sel_hi:[1,1,0]
	v_pk_fma_f16 v130, v61, s40, v172 op_sel:[0,0,1] op_sel_hi:[1,1,0]
	v_pk_fma_f16 v145, v61, s40, v172 op_sel:[0,0,1] op_sel_hi:[1,1,0] neg_lo:[1,0,0] neg_hi:[1,0,0]
	v_add_f16_e32 v16, v144, v16
	v_mul_f16_sdwa v172, v61, s23 dst_sel:DWORD dst_unused:UNUSED_PAD src0_sel:WORD_1 src1_sel:DWORD
	v_add_f16_sdwa v13, v129, v13 dst_sel:DWORD dst_unused:UNUSED_PAD src0_sel:WORD_1 src1_sel:DWORD
	v_add_f16_e32 v36, v145, v16
	v_fma_f16 v16, v60, s16, v172
	v_add_f16_sdwa v13, v130, v13 dst_sel:DWORD dst_unused:UNUSED_PAD src0_sel:WORD_1 src1_sel:DWORD
	v_add_f16_e32 v16, v16, v173
	v_mul_lo_u16_e32 v29, 17, v25
	s_barrier
	s_and_saveexec_b64 s[4:5], vcc
	s_cbranch_execz .LBB0_7
; %bb.6:
	v_mul_f16_e32 v176, 0x3722, v27
	v_alignbit_b32 v173, v0, v0, 16
	v_mul_f16_e32 v178, 0x2de8, v27
	v_mul_f16_e32 v187, 0xb8d2, v64
	v_sub_f16_e32 v41, v176, v41
	v_alignbit_b32 v56, v56, v56, 16
	v_mul_f16_e32 v189, 0xbbdd, v64
	v_mul_f16_e32 v198, 0xbbdd, v40
	v_sub_f16_e32 v47, v178, v47
	v_add_f16_e32 v41, v41, v0
	v_sub_f16_e32 v45, v187, v45
	v_pk_add_f16 v1, v1, v173 op_sel:[0,1] op_sel_hi:[1,0]
	v_mul_f16_e32 v200, 0xb461, v40
	v_mul_f16_e32 v209, 0xb461, v43
	v_add_f16_e32 v47, v47, v0
	v_sub_f16_e32 v48, v189, v48
	v_add_f16_e32 v41, v45, v41
	v_sub_f16_e32 v45, v198, v50
	v_pk_add_f16 v1, v56, v1
	v_mul_f16_e32 v211, 0x3b76, v43
	v_mul_f16_e32 v220, 0x39e9, v46
	v_add_f16_e32 v47, v48, v47
	v_sub_f16_e32 v48, v200, v53
	v_add_f16_e32 v41, v45, v41
	v_sub_f16_e32 v45, v209, v54
	v_pk_add_f16 v1, v15, v1
	;; [unrolled: 7-line block ×4, first 2 shown]
	v_mul_f16_e32 v195, 0x3722, v38
	v_mul_f16_e32 v244, 0xb8d2, v55
	;; [unrolled: 1-line block ×3, first 2 shown]
	v_add_f16_e32 v47, v48, v47
	v_sub_f16_e32 v48, v233, v65
	v_add_f16_e32 v41, v45, v41
	v_sub_f16_e32 v45, v242, v66
	v_pk_add_f16 v1, v19, v1
	v_mul_f16_e32 v175, 0x39e9, v155
	v_mul_f16_e32 v180, 0xb461, v27
	;; [unrolled: 1-line block ×3, first 2 shown]
	v_add_f16_e32 v137, v137, v195
	v_mul_f16_e32 v195, 0x39e9, v60
	v_add_f16_e32 v47, v48, v47
	v_sub_f16_e32 v48, v244, v67
	v_add_f16_e32 v41, v45, v41
	v_sub_f16_e32 v45, v253, v68
	v_pk_add_f16 v1, v20, v1
	v_mul_f16_e32 v177, 0x3722, v155
	v_mul_f16_e32 v186, 0x2de8, v38
	;; [unrolled: 1-line block ×4, first 2 shown]
	v_sub_f16_e32 v87, v182, v87
	v_sub_f16_e32 v75, v180, v75
	v_add_f16_e32 v47, v48, v47
	v_sub_f16_e32 v48, v195, v69
	v_add_f16_e32 v41, v45, v41
	v_add_f16_e32 v45, v72, v175
	v_pk_add_f16 v1, v17, v1
	v_mul_f16_e32 v188, 0xb8d2, v38
	v_mul_f16_e32 v197, 0xb8d2, v160
	;; [unrolled: 1-line block ×4, first 2 shown]
	v_add_f16_e32 v87, v87, v0
	v_sub_f16_e32 v88, v193, v88
	v_add_f16_e32 v75, v75, v0
	v_sub_f16_e32 v76, v191, v76
	v_add_f16_e32 v47, v48, v47
	v_add_f16_e32 v48, v82, v177
	v_add_f16_sdwa v45, v45, v0 dst_sel:DWORD dst_unused:UNUSED_PAD src0_sel:DWORD src1_sel:WORD_1
	v_add_f16_e32 v50, v73, v186
	v_pk_add_f16 v1, v18, v1
	v_mul_f16_e32 v199, 0xbbdd, v160
	v_mul_f16_e32 v208, 0xbbdd, v162
	;; [unrolled: 1-line block ×4, first 2 shown]
	v_add_f16_e32 v87, v88, v87
	v_sub_f16_e32 v88, v204, v89
	v_add_f16_e32 v75, v76, v75
	v_sub_f16_e32 v76, v202, v77
	v_add_f16_sdwa v48, v48, v0 dst_sel:DWORD dst_unused:UNUSED_PAD src0_sel:DWORD src1_sel:WORD_1
	v_add_f16_e32 v53, v83, v188
	v_add_f16_e32 v45, v50, v45
	;; [unrolled: 1-line block ×3, first 2 shown]
	v_pk_add_f16 v1, v2, v1
	v_mul_f16_e32 v210, 0xb461, v162
	v_mul_f16_e32 v219, 0xbacd, v165
	;; [unrolled: 1-line block ×4, first 2 shown]
	v_add_f16_e32 v87, v88, v87
	v_sub_f16_e32 v88, v215, v91
	v_add_f16_e32 v75, v76, v75
	v_sub_f16_e32 v76, v213, v78
	v_add_f16_e32 v48, v53, v48
	v_add_f16_e32 v53, v97, v199
	;; [unrolled: 1-line block ×4, first 2 shown]
	v_pk_add_f16 v1, v3, v1
	v_mul_f16_e32 v221, 0x39e9, v165
	v_mul_f16_e32 v230, 0xb461, v167
	;; [unrolled: 1-line block ×4, first 2 shown]
	v_add_f16_e32 v87, v88, v87
	v_sub_f16_e32 v88, v226, v93
	v_add_f16_e32 v75, v76, v75
	v_sub_f16_e32 v76, v224, v79
	v_add_f16_e32 v48, v53, v48
	v_add_f16_e32 v53, v102, v210
	;; [unrolled: 1-line block ×4, first 2 shown]
	v_pk_add_f16 v1, v4, v1
	v_mul_f16_e32 v201, 0xb461, v160
	v_mul_f16_e32 v203, 0x39e9, v160
	;; [unrolled: 1-line block ×12, first 2 shown]
	v_add_f16_e32 v87, v88, v87
	v_sub_f16_e32 v88, v237, v94
	v_add_f16_e32 v75, v76, v75
	v_sub_f16_e32 v76, v235, v81
	v_add_f16_e32 v48, v53, v48
	v_add_f16_e32 v53, v108, v221
	;; [unrolled: 1-line block ×4, first 2 shown]
	v_pk_add_f16 v1, v5, v1
	v_mul_f16_e32 v179, 0x2de8, v155
	v_mul_f16_e32 v181, 0xb461, v155
	;; [unrolled: 1-line block ×6, first 2 shown]
	v_add_f16_e32 v148, v148, v160
	v_mul_f16_e32 v160, 0xb8d2, v60
	v_add_f16_e32 v152, v152, v162
	v_mul_f16_e32 v162, 0x3722, v60
	v_add_f16_e32 v87, v88, v87
	v_sub_f16_e32 v88, v248, v98
	v_add_f16_e32 v75, v76, v75
	v_sub_f16_e32 v76, v246, v85
	v_add_f16_e32 v48, v53, v48
	v_add_f16_e32 v53, v112, v232
	;; [unrolled: 1-line block ×4, first 2 shown]
	v_pk_add_f16 v1, v6, v1
	v_mul_f16_e32 v174, 0x3b76, v27
	v_mul_f16_e32 v184, 0xbacd, v27
	v_add_f16_e32 v136, v136, v155
	v_mul_f16_e32 v155, 0xbacd, v170
	v_add_f16_e32 v87, v88, v87
	v_sub_f16_e32 v88, v162, v100
	v_add_f16_e32 v75, v76, v75
	v_sub_f16_e32 v76, v160, v86
	v_add_f16_e32 v48, v53, v48
	v_add_f16_e32 v53, v117, v243
	;; [unrolled: 1-line block ×4, first 2 shown]
	s_mov_b32 s26, 0xffff
	v_pk_add_f16 v1, v7, v1
	v_mul_f16_e32 v185, 0x39e9, v64
	v_sub_f16_e32 v121, v184, v121
	v_add_f16_e32 v114, v114, v183
	v_add_f16_e32 v87, v88, v87
	;; [unrolled: 1-line block ×8, first 2 shown]
	v_bfi_b32 v50, s26, v118, v138
	v_sub_f16_e32 v66, v174, v70
	v_add_lshl_u32 v15, v23, v29, 2
	v_pk_add_f16 v1, v24, v1
	v_mul_f16_e32 v190, 0xbbdd, v38
	v_mul_f16_e32 v196, 0x3722, v40
	v_add_f16_sdwa v136, v136, v0 dst_sel:DWORD dst_unused:UNUSED_PAD src0_sel:DWORD src1_sel:WORD_1
	v_add_f16_e32 v121, v121, v0
	v_add_f16_sdwa v114, v114, v0 dst_sel:DWORD dst_unused:UNUSED_PAD src0_sel:DWORD src1_sel:WORD_1
	v_add_f16_sdwa v88, v88, v0 dst_sel:DWORD dst_unused:UNUSED_PAD src0_sel:DWORD src1_sel:WORD_1
	;; [unrolled: 1-line block ×3, first 2 shown]
	v_add_f16_e32 v48, v53, v48
	v_bfi_b32 v53, s26, v120, v139
	v_add_f16_e32 v0, v66, v0
	v_sub_f16_e32 v66, v185, v71
	ds_write_b32 v15, v1
	v_pk_add_f16 v1, v50, v173
	v_mul_f16_e32 v192, 0xbacd, v38
	v_mul_f16_e32 v194, 0xb461, v38
	;; [unrolled: 1-line block ×3, first 2 shown]
	v_add_f16_e32 v77, v96, v190
	v_bfi_b32 v54, s26, v122, v140
	v_add_f16_e32 v0, v66, v0
	v_sub_f16_e32 v66, v196, v74
	v_pk_add_f16 v1, v53, v1
	v_mul_f16_e32 v218, 0xb461, v46
	v_add_f16_e32 v115, v115, v194
	v_add_f16_e32 v89, v107, v192
	;; [unrolled: 1-line block ×4, first 2 shown]
	v_bfi_b32 v58, s26, v124, v141
	v_add_f16_e32 v0, v66, v0
	v_sub_f16_e32 v66, v207, v80
	v_pk_add_f16 v1, v54, v1
	v_mul_f16_e32 v223, 0x3722, v165
	v_mul_f16_e32 v229, 0xb8d2, v51
	v_add_f16_e32 v114, v115, v114
	v_add_f16_e32 v115, v128, v205
	;; [unrolled: 1-line block ×6, first 2 shown]
	v_bfi_b32 v59, s26, v125, v142
	v_add_f16_e32 v0, v66, v0
	v_sub_f16_e32 v66, v218, v90
	v_pk_add_f16 v1, v58, v1
	v_mul_f16_e32 v225, 0xbbdd, v165
	v_mul_f16_e32 v227, 0x2de8, v165
	;; [unrolled: 1-line block ×4, first 2 shown]
	v_add_f16_e32 v114, v115, v114
	v_add_f16_e32 v115, v135, v216
	;; [unrolled: 1-line block ×6, first 2 shown]
	v_bfi_b32 v62, s26, v126, v143
	v_add_f16_e32 v0, v66, v0
	v_sub_f16_e32 v66, v229, v99
	v_pk_add_f16 v1, v59, v1
	v_mul_f16_e32 v236, 0x2de8, v167
	v_mul_f16_e32 v238, 0x39e9, v167
	;; [unrolled: 1-line block ×4, first 2 shown]
	v_add_f16_e32 v136, v137, v136
	v_add_f16_e32 v114, v115, v114
	v_add_f16_e32 v115, v149, v227
	v_add_f16_e32 v88, v89, v88
	v_add_f16_e32 v89, v131, v225
	v_add_f16_e32 v76, v77, v76
	v_add_f16_e32 v77, v127, v234
	v_bfi_b32 v63, s26, v129, v144
	v_add_f16_e32 v0, v66, v0
	v_sub_f16_e32 v66, v240, v103
	v_pk_add_f16 v1, v62, v1
	v_mul_f16_e32 v247, 0x3b76, v168
	v_mul_f16_e32 v249, 0xbbdd, v168
	;; [unrolled: 1-line block ×3, first 2 shown]
	v_add_f16_e32 v136, v148, v136
	v_add_f16_e32 v114, v115, v114
	;; [unrolled: 1-line block ×7, first 2 shown]
	v_bfi_b32 v65, s26, v130, v145
	v_add_f16_e32 v0, v66, v0
	v_sub_f16_e32 v66, v251, v111
	v_pk_add_f16 v1, v63, v1
	v_mul_f16_e32 v148, 0xb8d2, v170
	v_add_f16_e32 v136, v152, v136
	v_mul_f16_e32 v152, 0x3722, v170
	v_add_f16_e32 v114, v115, v114
	v_add_f16_e32 v115, v159, v249
	;; [unrolled: 1-line block ×7, first 2 shown]
	v_pk_add_f16 v1, v65, v1
	v_add_f16_e32 v114, v115, v114
	v_add_f16_e32 v115, v169, v152
	;; [unrolled: 1-line block ×5, first 2 shown]
	v_alignbit_b32 v2, v45, v1, 16
	v_pack_b32_f16 v0, v0, v1
	v_add_f16_e32 v114, v115, v114
	v_add_f16_e32 v88, v89, v88
	ds_write2_b32 v15, v0, v2 offset0:1 offset1:2
	v_pack_b32_f16 v0, v47, v76
	v_pack_b32_f16 v1, v41, v48
	ds_write2_b32 v15, v1, v0 offset0:3 offset1:4
	v_pack_b32_f16 v0, v87, v114
	v_pack_b32_f16 v1, v75, v88
	ds_write2_b32 v15, v1, v0 offset0:5 offset1:6
	v_pk_mul_f16 v0, v37, s15 op_sel_hi:[1,0]
	v_pk_mul_f16 v1, v39, s19 op_sel_hi:[1,0]
	v_pk_fma_f16 v17, v27, s14, v0 op_sel:[0,0,1] op_sel_hi:[1,0,0] neg_lo:[0,0,1] neg_hi:[0,0,1]
	v_pk_fma_f16 v0, v27, s14, v0 op_sel:[0,0,1] op_sel_hi:[1,0,0]
	v_bfi_b32 v18, s26, v17, v0
	v_pk_fma_f16 v19, v38, s17, v1 op_sel_hi:[1,0,1] neg_lo:[0,0,1] neg_hi:[0,0,1]
	v_pk_fma_f16 v1, v38, s17, v1 op_sel_hi:[1,0,1]
	v_pk_mul_f16 v2, v42, s22 op_sel_hi:[1,0]
	v_pk_add_f16 v18, v18, v173 op_sel:[0,1] op_sel_hi:[1,0]
	v_alignbit_b32 v20, v1, v19, 16
	v_pk_add_f16 v18, v20, v18
	v_pk_fma_f16 v20, v40, s21, v2 op_sel:[0,0,1] op_sel_hi:[1,0,0] neg_lo:[0,0,1] neg_hi:[0,0,1]
	v_pk_fma_f16 v2, v40, s21, v2 op_sel:[0,0,1] op_sel_hi:[1,0,0]
	v_pk_mul_f16 v3, v44, s20 op_sel_hi:[1,0]
	v_bfi_b32 v21, s26, v20, v2
	v_pk_add_f16 v18, v21, v18
	v_pk_fma_f16 v21, v43, s18, v3 op_sel:[0,0,1] op_sel_hi:[1,0,0] neg_lo:[0,0,1] neg_hi:[0,0,1]
	v_pk_fma_f16 v3, v43, s18, v3 op_sel:[0,0,1] op_sel_hi:[1,0,0]
	v_pk_mul_f16 v4, v49, s11 op_sel_hi:[1,0]
	v_bfi_b32 v22, s26, v21, v3
	v_pk_add_f16 v18, v22, v18
	v_pk_fma_f16 v22, v46, s10, v4 op_sel:[0,0,1] op_sel_hi:[1,0,0] neg_lo:[0,0,1] neg_hi:[0,0,1]
	v_pk_fma_f16 v4, v46, s10, v4 op_sel:[0,0,1] op_sel_hi:[1,0,0]
	v_bfi_b32 v0, s26, v0, v17
	v_pk_mul_f16 v5, v52, s25 op_sel_hi:[1,0]
	v_bfi_b32 v24, s26, v22, v4
	v_pk_add_f16 v0, v0, v173 op_sel:[0,1] op_sel_hi:[1,0]
	v_alignbit_b32 v1, v19, v1, 16
	v_mul_f16_e32 v64, 0x3722, v64
	v_pk_add_f16 v18, v24, v18
	v_pk_fma_f16 v24, v51, s8, v5 op_sel:[0,0,1] op_sel_hi:[1,0,0] neg_lo:[0,0,1] neg_hi:[0,0,1]
	v_pk_fma_f16 v5, v51, s8, v5 op_sel:[0,0,1] op_sel_hi:[1,0,0]
	v_pk_add_f16 v0, v1, v0
	v_bfi_b32 v1, s26, v2, v20
	v_mul_f16_e32 v206, 0x2de8, v40
	v_sub_f16_e32 v64, v64, v123
	v_pk_mul_f16 v6, v57, s23 op_sel_hi:[1,0]
	v_bfi_b32 v27, s26, v24, v5
	v_pk_add_f16 v0, v1, v0
	v_bfi_b32 v1, s26, v3, v21
	v_mul_f16_e32 v217, 0xb8d2, v43
	v_add_f16_e32 v64, v64, v121
	v_sub_f16_e32 v121, v206, v133
	v_pk_add_f16 v18, v27, v18
	v_pk_fma_f16 v27, v55, s16, v6 op_sel:[0,0,1] op_sel_hi:[1,0,0] neg_lo:[0,0,1] neg_hi:[0,0,1]
	v_pk_fma_f16 v6, v55, s16, v6 op_sel:[0,0,1] op_sel_hi:[1,0,0]
	v_pk_add_f16 v0, v1, v0
	v_bfi_b32 v1, s26, v4, v22
	v_mul_f16_e32 v228, 0x3b76, v46
	v_mul_f16_e32 v165, 0x3b76, v165
	v_add_f16_e32 v64, v121, v64
	v_sub_f16_e32 v121, v217, v147
	v_pk_mul_f16 v7, v61, s24 op_sel_hi:[1,0]
	v_bfi_b32 v37, s26, v27, v6
	v_pk_add_f16 v0, v1, v0
	v_bfi_b32 v1, s26, v5, v24
	v_mul_f16_e32 v239, 0xbbdd, v51
	v_mul_f16_e32 v167, 0xbbdd, v167
	v_add_f16_e32 v157, v157, v165
	v_add_f16_e32 v64, v121, v64
	v_sub_f16_e32 v121, v228, v153
	v_pk_add_f16 v18, v37, v18
	v_pk_fma_f16 v37, v60, s9, v7 op_sel:[0,0,1] op_sel_hi:[1,0,0] neg_lo:[0,0,1] neg_hi:[0,0,1]
	v_pk_fma_f16 v7, v60, s9, v7 op_sel:[0,0,1] op_sel_hi:[1,0,0]
	v_pk_add_f16 v0, v1, v0
	v_bfi_b32 v1, s26, v6, v27
	v_mul_f16_e32 v250, 0x39e9, v55
	v_mul_f16_e32 v168, 0x39e9, v168
	v_add_f16_e32 v136, v157, v136
	v_add_f16_e32 v157, v161, v167
	;; [unrolled: 1-line block ×3, first 2 shown]
	v_sub_f16_e32 v121, v239, v158
	v_pk_add_f16 v0, v1, v0
	v_bfi_b32 v1, s26, v7, v37
	s_mov_b32 s8, 0x5040100
	v_mul_f16_e32 v165, 0xb461, v60
	v_mul_f16_e32 v170, 0xb461, v170
	v_add_f16_e32 v136, v157, v136
	v_add_f16_e32 v157, v166, v168
	;; [unrolled: 1-line block ×3, first 2 shown]
	v_sub_f16_e32 v121, v250, v163
	v_pk_add_f16 v0, v1, v0
	v_perm_b32 v1, v34, v16, s8
	v_add_f16_e32 v136, v157, v136
	v_add_f16_e32 v157, v171, v170
	;; [unrolled: 1-line block ×3, first 2 shown]
	v_sub_f16_e32 v121, v165, v172
	ds_write2_b32 v15, v0, v1 offset0:9 offset1:10
	v_perm_b32 v0, v33, v12, s8
	v_perm_b32 v1, v35, v11, s8
	v_add_f16_e32 v136, v157, v136
	v_add_f16_e32 v64, v121, v64
	v_bfi_b32 v38, s26, v37, v7
	ds_write2_b32 v15, v1, v0 offset0:11 offset1:12
	v_perm_b32 v0, v31, v10, s8
	v_perm_b32 v1, v32, v9, s8
	v_pk_add_f16 v18, v38, v18
	v_pack_b32_f16 v38, v64, v136
	ds_write2_b32 v15, v1, v0 offset0:13 offset1:14
	v_perm_b32 v0, v36, v14, s8
	v_perm_b32 v1, v30, v13, s8
	ds_write2_b32 v15, v38, v18 offset0:7 offset1:8
	ds_write2_b32 v15, v1, v0 offset0:15 offset1:16
.LBB0_7:
	s_or_b64 exec, exec, s[4:5]
	s_load_dwordx4 s[8:11], s[0:1], 0x0
	s_movk_i32 s0, 0xffef
	v_add_co_u32_e64 v0, s[0:1], s0, v25
	v_addc_co_u32_e64 v1, s[0:1], 0, -1, s[0:1]
	v_cmp_gt_u16_e64 s[0:1], 17, v25
	v_cndmask_b32_e64 v1, v1, 0, s[0:1]
	v_cndmask_b32_e64 v0, v0, v25, s[0:1]
	v_lshlrev_b64 v[1:2], 2, v[0:1]
	v_mov_b32_e32 v3, s3
	v_add_co_u32_e64 v1, s[0:1], s2, v1
	v_addc_co_u32_e64 v2, s[0:1], v3, v2, s[0:1]
	v_add_u16_e32 v3, 34, v25
	s_movk_i32 s0, 0xf1
	v_mul_lo_u16_sdwa v4, v3, s0 dst_sel:DWORD dst_unused:UNUSED_PAD src0_sel:BYTE_0 src1_sel:DWORD
	v_add_u16_e32 v5, 0x44, v25
	s_waitcnt lgkmcnt(0)
	s_barrier
	v_lshrrev_b16_e32 v7, 12, v4
	v_mul_lo_u16_sdwa v6, v5, s0 dst_sel:DWORD dst_unused:UNUSED_PAD src0_sel:BYTE_0 src1_sel:DWORD
	global_load_dword v42, v[1:2], off
	v_mul_lo_u16_e32 v4, 17, v7
	v_lshrrev_b16_e32 v21, 12, v6
	v_sub_u16_e32 v15, v3, v4
	v_mov_b32_e32 v3, 2
	v_mul_lo_u16_e32 v6, 17, v21
	v_lshlrev_b32_sdwa v4, v3, v15 dst_sel:DWORD dst_unused:UNUSED_PAD src0_sel:DWORD src1_sel:BYTE_0
	v_sub_u16_e32 v22, v5, v6
	v_add_u16_e32 v6, 0x66, v25
	v_mul_lo_u16_sdwa v17, v6, s0 dst_sel:DWORD dst_unused:UNUSED_PAD src0_sel:BYTE_0 src1_sel:DWORD
	global_load_dword v41, v4, s[2:3]
	v_lshrrev_b16_e32 v24, 12, v17
	v_lshlrev_b32_sdwa v5, v3, v22 dst_sel:DWORD dst_unused:UNUSED_PAD src0_sel:DWORD src1_sel:BYTE_0
	global_load_dword v40, v5, s[2:3]
	v_mul_lo_u16_e32 v17, 17, v24
	v_sub_u16_e32 v27, v6, v17
	v_add_u16_e32 v17, 0x88, v25
	v_mul_lo_u16_sdwa v18, v17, s0 dst_sel:DWORD dst_unused:UNUSED_PAD src0_sel:BYTE_0 src1_sel:DWORD
	v_lshlrev_b32_sdwa v6, v3, v27 dst_sel:DWORD dst_unused:UNUSED_PAD src0_sel:DWORD src1_sel:BYTE_0
	global_load_dword v39, v6, s[2:3]
	v_lshrrev_b16_e32 v47, 12, v18
	v_mul_lo_u16_e32 v1, 17, v47
	v_sub_u16_e32 v48, v17, v1
	v_lshlrev_b32_sdwa v1, v3, v48 dst_sel:DWORD dst_unused:UNUSED_PAD src0_sel:DWORD src1_sel:BYTE_0
	global_load_dword v38, v1, s[2:3]
	v_add_lshl_u32 v37, v23, v25, 2
	ds_read2_b32 v[1:2], v37 offset1:34
	ds_read2_b32 v[3:4], v37 offset0:136 offset1:170
	ds_read2_b32 v[5:6], v37 offset0:204 offset1:238
	;; [unrolled: 1-line block ×3, first 2 shown]
	v_cmp_lt_u16_e64 s[0:1], 16, v25
	s_waitcnt lgkmcnt(3)
	v_lshrrev_b32_e32 v43, 16, v1
	s_waitcnt lgkmcnt(2)
	v_lshrrev_b32_e32 v44, 16, v4
	v_add_u32_e32 v49, 0x400, v37
	s_waitcnt lgkmcnt(1)
	v_lshrrev_b32_e32 v46, 16, v5
	ds_read2_b32 v[19:20], v49 offset0:16 offset1:50
	v_lshrrev_b32_e32 v45, 16, v2
	v_lshrrev_b32_e32 v51, 16, v6
	s_waitcnt vmcnt(0) lgkmcnt(0)
	s_barrier
	v_lshrrev_b32_e32 v50, 16, v17
	v_lshrrev_b32_e32 v54, 16, v19
	;; [unrolled: 1-line block ×5, first 2 shown]
	s_mov_b32 s4, 0xb8b4
	s_movk_i32 s5, 0x3a79
	v_mul_f16_sdwa v57, v4, v42 dst_sel:DWORD dst_unused:UNUSED_PAD src0_sel:DWORD src1_sel:WORD_1
	v_mul_f16_sdwa v56, v44, v42 dst_sel:DWORD dst_unused:UNUSED_PAD src0_sel:DWORD src1_sel:WORD_1
	v_fma_f16 v44, v44, v42, v57
	v_fma_f16 v4, v4, v42, -v56
	v_sub_f16_e32 v44, v43, v44
	v_sub_f16_e32 v4, v1, v4
	v_fma_f16 v56, v43, 2.0, -v44
	v_cndmask_b32_e64 v43, 0, 34, s[0:1]
	v_fma_f16 v1, v1, 2.0, -v4
	v_add_u32_e32 v0, v0, v43
	v_mul_f16_sdwa v58, v46, v41 dst_sel:DWORD dst_unused:UNUSED_PAD src0_sel:DWORD src1_sel:WORD_1
	v_mul_f16_sdwa v59, v5, v41 dst_sel:DWORD dst_unused:UNUSED_PAD src0_sel:DWORD src1_sel:WORD_1
	v_fma_f16 v5, v5, v41, -v58
	v_fma_f16 v46, v46, v41, v59
	v_add_lshl_u32 v43, v23, v0, 2
	v_pack_b32_f16 v0, v1, v56
	v_pack_b32_f16 v1, v4, v44
	v_sub_f16_e32 v5, v2, v5
	v_sub_f16_e32 v46, v45, v46
	ds_write2_b32 v43, v0, v1 offset1:17
	v_mad_legacy_u16 v0, v7, 34, v15
	v_mul_f16_sdwa v60, v51, v40 dst_sel:DWORD dst_unused:UNUSED_PAD src0_sel:DWORD src1_sel:WORD_1
	v_mul_f16_sdwa v61, v6, v40 dst_sel:DWORD dst_unused:UNUSED_PAD src0_sel:DWORD src1_sel:WORD_1
	v_fma_f16 v2, v2, 2.0, -v5
	v_fma_f16 v45, v45, 2.0, -v46
	v_and_b32_e32 v0, 0xff, v0
	v_fma_f16 v6, v6, v40, -v60
	v_fma_f16 v51, v51, v40, v61
	v_add_lshl_u32 v44, v23, v0, 2
	v_pack_b32_f16 v0, v2, v45
	v_pack_b32_f16 v1, v5, v46
	v_sub_f16_e32 v6, v17, v6
	v_sub_f16_e32 v51, v50, v51
	ds_write2_b32 v44, v0, v1 offset1:17
	v_mul_u32_u24_e32 v0, 34, v21
	v_mul_f16_sdwa v62, v54, v39 dst_sel:DWORD dst_unused:UNUSED_PAD src0_sel:DWORD src1_sel:WORD_1
	v_mul_f16_sdwa v63, v19, v39 dst_sel:DWORD dst_unused:UNUSED_PAD src0_sel:DWORD src1_sel:WORD_1
	v_fma_f16 v17, v17, 2.0, -v6
	v_fma_f16 v50, v50, 2.0, -v51
	v_add_u32_sdwa v0, v0, v22 dst_sel:DWORD dst_unused:UNUSED_PAD src0_sel:DWORD src1_sel:BYTE_0
	v_fma_f16 v19, v19, v39, -v62
	v_fma_f16 v54, v54, v39, v63
	v_add_lshl_u32 v45, v23, v0, 2
	v_pack_b32_f16 v0, v17, v50
	v_pack_b32_f16 v1, v6, v51
	v_sub_f16_e32 v19, v18, v19
	v_sub_f16_e32 v54, v52, v54
	ds_write2_b32 v45, v0, v1 offset1:17
	v_mul_u32_u24_e32 v0, 34, v24
	v_mul_f16_sdwa v64, v55, v38 dst_sel:DWORD dst_unused:UNUSED_PAD src0_sel:DWORD src1_sel:WORD_1
	v_mul_f16_sdwa v65, v20, v38 dst_sel:DWORD dst_unused:UNUSED_PAD src0_sel:DWORD src1_sel:WORD_1
	v_fma_f16 v18, v18, 2.0, -v19
	v_fma_f16 v52, v52, 2.0, -v54
	v_add_u32_sdwa v0, v0, v27 dst_sel:DWORD dst_unused:UNUSED_PAD src0_sel:DWORD src1_sel:BYTE_0
	v_fma_f16 v20, v20, v38, -v64
	v_fma_f16 v55, v55, v38, v65
	v_add_lshl_u32 v46, v23, v0, 2
	v_pack_b32_f16 v0, v18, v52
	v_pack_b32_f16 v1, v19, v54
	v_mad_u64_u32 v[17:18], s[0:1], v25, 36, s[2:3]
	v_sub_f16_e32 v20, v3, v20
	v_sub_f16_e32 v55, v53, v55
	ds_write2_b32 v46, v0, v1 offset1:17
	v_mul_u32_u24_e32 v0, 34, v47
	v_fma_f16 v3, v3, 2.0, -v20
	v_fma_f16 v53, v53, 2.0, -v55
	v_add_u32_sdwa v0, v0, v48 dst_sel:DWORD dst_unused:UNUSED_PAD src0_sel:DWORD src1_sel:BYTE_0
	v_add_lshl_u32 v48, v23, v0, 2
	v_pack_b32_f16 v0, v3, v53
	v_pack_b32_f16 v1, v20, v55
	ds_write2_b32 v48, v0, v1 offset1:17
	s_waitcnt lgkmcnt(0)
	s_barrier
	global_load_dwordx4 v[0:3], v[17:18], off offset:68
	global_load_dwordx4 v[4:7], v[17:18], off offset:84
	global_load_dword v47, v[17:18], off offset:100
	ds_read2_b32 v[17:18], v37 offset1:34
	ds_read2_b32 v[19:20], v37 offset0:68 offset1:102
	ds_read2_b32 v[21:22], v37 offset0:136 offset1:170
	ds_read2_b32 v[23:24], v37 offset0:204 offset1:238
	ds_read2_b32 v[49:50], v49 offset0:16 offset1:50
	s_waitcnt lgkmcnt(4)
	v_lshrrev_b32_e32 v27, 16, v18
	s_waitcnt lgkmcnt(3)
	v_lshrrev_b32_e32 v52, 16, v20
	;; [unrolled: 2-line block ×3, first 2 shown]
	v_lshrrev_b32_e32 v54, 16, v22
	s_waitcnt lgkmcnt(1)
	v_lshrrev_b32_e32 v55, 16, v23
	v_lshrrev_b32_e32 v56, 16, v24
	s_waitcnt lgkmcnt(0)
	v_lshrrev_b32_e32 v57, 16, v49
	v_lshrrev_b32_e32 v51, 16, v19
	s_movk_i32 s0, 0x3b9c
	s_mov_b32 s3, 0xbb9c
	v_lshrrev_b32_e32 v58, 16, v50
	s_movk_i32 s1, 0x38b4
	s_movk_i32 s2, 0x34f2
	v_lshrrev_b32_e32 v15, 16, v17
	s_waitcnt vmcnt(2)
	v_mul_f16_sdwa v59, v27, v0 dst_sel:DWORD dst_unused:UNUSED_PAD src0_sel:DWORD src1_sel:WORD_1
	v_mul_f16_sdwa v63, v52, v2 dst_sel:DWORD dst_unused:UNUSED_PAD src0_sel:DWORD src1_sel:WORD_1
	;; [unrolled: 1-line block ×3, first 2 shown]
	v_fma_f16 v18, v18, v0, -v59
	v_fma_f16 v59, v20, v2, -v63
	v_mul_f16_sdwa v20, v20, v2 dst_sel:DWORD dst_unused:UNUSED_PAD src0_sel:DWORD src1_sel:WORD_1
	v_fma_f16 v20, v52, v2, v20
	v_mul_f16_sdwa v52, v53, v3 dst_sel:DWORD dst_unused:UNUSED_PAD src0_sel:DWORD src1_sel:WORD_1
	v_fma_f16 v52, v21, v3, -v52
	v_mul_f16_sdwa v21, v21, v3 dst_sel:DWORD dst_unused:UNUSED_PAD src0_sel:DWORD src1_sel:WORD_1
	v_fma_f16 v21, v53, v3, v21
	s_waitcnt vmcnt(1)
	v_mul_f16_sdwa v53, v54, v4 dst_sel:DWORD dst_unused:UNUSED_PAD src0_sel:DWORD src1_sel:WORD_1
	v_fma_f16 v53, v22, v4, -v53
	v_mul_f16_sdwa v22, v22, v4 dst_sel:DWORD dst_unused:UNUSED_PAD src0_sel:DWORD src1_sel:WORD_1
	v_fma_f16 v22, v54, v4, v22
	v_mul_f16_sdwa v54, v55, v5 dst_sel:DWORD dst_unused:UNUSED_PAD src0_sel:DWORD src1_sel:WORD_1
	v_fma_f16 v54, v23, v5, -v54
	v_mul_f16_sdwa v23, v23, v5 dst_sel:DWORD dst_unused:UNUSED_PAD src0_sel:DWORD src1_sel:WORD_1
	v_fma_f16 v23, v55, v5, v23
	;; [unrolled: 4-line block ×3, first 2 shown]
	v_mul_f16_sdwa v56, v57, v7 dst_sel:DWORD dst_unused:UNUSED_PAD src0_sel:DWORD src1_sel:WORD_1
	v_mul_f16_sdwa v62, v19, v1 dst_sel:DWORD dst_unused:UNUSED_PAD src0_sel:DWORD src1_sel:WORD_1
	v_fma_f16 v56, v49, v7, -v56
	v_mul_f16_sdwa v49, v49, v7 dst_sel:DWORD dst_unused:UNUSED_PAD src0_sel:DWORD src1_sel:WORD_1
	v_mul_f16_sdwa v61, v51, v1 dst_sel:DWORD dst_unused:UNUSED_PAD src0_sel:DWORD src1_sel:WORD_1
	v_fma_f16 v27, v27, v0, v60
	v_fma_f16 v51, v51, v1, v62
	;; [unrolled: 1-line block ×3, first 2 shown]
	v_add_f16_e32 v60, v52, v54
	v_fma_f16 v19, v19, v1, -v61
	v_fma_f16 v60, v60, -0.5, v17
	v_sub_f16_e32 v61, v51, v49
	v_fma_f16 v62, v61, s0, v60
	v_sub_f16_e32 v63, v21, v23
	v_sub_f16_e32 v64, v19, v52
	;; [unrolled: 1-line block ×3, first 2 shown]
	v_fma_f16 v60, v61, s3, v60
	s_waitcnt vmcnt(0)
	v_mul_f16_sdwa v57, v58, v47 dst_sel:DWORD dst_unused:UNUSED_PAD src0_sel:DWORD src1_sel:WORD_1
	v_fma_f16 v62, v63, s1, v62
	v_add_f16_e32 v64, v64, v65
	v_fma_f16 v60, v63, s4, v60
	v_fma_f16 v57, v50, v47, -v57
	v_mul_f16_sdwa v50, v50, v47 dst_sel:DWORD dst_unused:UNUSED_PAD src0_sel:DWORD src1_sel:WORD_1
	v_fma_f16 v62, v64, s2, v62
	v_fma_f16 v60, v64, s2, v60
	v_add_f16_e32 v64, v19, v56
	v_fma_f16 v50, v58, v47, v50
	v_add_f16_e32 v58, v17, v19
	v_fma_f16 v17, v64, -0.5, v17
	v_fma_f16 v64, v63, s3, v17
	v_sub_f16_e32 v65, v52, v19
	v_sub_f16_e32 v66, v54, v56
	v_fma_f16 v17, v63, s0, v17
	v_add_f16_e32 v65, v65, v66
	v_fma_f16 v17, v61, s4, v17
	v_fma_f16 v64, v61, s1, v64
	;; [unrolled: 1-line block ×3, first 2 shown]
	v_add_f16_e32 v17, v15, v51
	v_add_f16_e32 v17, v17, v21
	;; [unrolled: 1-line block ×7, first 2 shown]
	v_fma_f16 v17, v17, -0.5, v15
	v_sub_f16_e32 v19, v19, v56
	v_add_f16_e32 v58, v58, v56
	v_fma_f16 v56, v19, s3, v17
	v_sub_f16_e32 v52, v52, v54
	v_fma_f16 v64, v65, s2, v64
	v_fma_f16 v54, v52, s4, v56
	v_sub_f16_e32 v56, v51, v21
	v_sub_f16_e32 v65, v49, v23
	v_fma_f16 v17, v19, s0, v17
	v_add_f16_e32 v56, v56, v65
	v_fma_f16 v17, v52, s1, v17
	v_fma_f16 v66, v56, s2, v17
	v_add_f16_e32 v17, v51, v49
	v_fma_f16 v15, v17, -0.5, v15
	v_fma_f16 v17, v52, s0, v15
	v_sub_f16_e32 v21, v21, v51
	v_sub_f16_e32 v23, v23, v49
	v_fma_f16 v17, v19, s4, v17
	v_add_f16_e32 v21, v21, v23
	v_fma_f16 v49, v21, s2, v17
	v_fma_f16 v15, v52, s3, v15
	v_add_f16_e32 v17, v53, v55
	v_fma_f16 v15, v19, s1, v15
	v_fma_f16 v17, v17, -0.5, v18
	v_sub_f16_e32 v19, v20, v50
	v_fma_f16 v67, v21, s2, v15
	v_fma_f16 v21, v19, s0, v17
	v_sub_f16_e32 v23, v22, v24
	v_sub_f16_e32 v51, v59, v53
	v_sub_f16_e32 v52, v57, v55
	v_fma_f16 v17, v19, s3, v17
	v_add_f16_e32 v51, v51, v52
	v_fma_f16 v17, v23, s4, v17
	v_fma_f16 v65, v56, s2, v54
	v_fma_f16 v56, v51, s2, v17
	v_add_f16_e32 v17, v59, v57
	v_fma_f16 v21, v23, s1, v21
	v_fma_f16 v17, v17, -0.5, v18
	v_add_f16_e32 v15, v18, v59
	v_fma_f16 v21, v51, s2, v21
	v_fma_f16 v18, v23, s3, v17
	v_sub_f16_e32 v51, v53, v59
	v_sub_f16_e32 v52, v55, v57
	v_fma_f16 v17, v23, s0, v17
	v_add_f16_e32 v51, v51, v52
	v_fma_f16 v17, v19, s4, v17
	v_fma_f16 v23, v51, s2, v17
	v_add_f16_e32 v17, v27, v20
	v_add_f16_e32 v17, v17, v22
	v_add_f16_e32 v17, v17, v24
	v_fma_f16 v18, v19, s1, v18
	v_add_f16_e32 v68, v17, v50
	v_add_f16_e32 v17, v22, v24
	v_fma_f16 v54, v51, s2, v18
	v_fma_f16 v17, v17, -0.5, v27
	v_sub_f16_e32 v18, v59, v57
	v_add_f16_e32 v15, v15, v53
	v_fma_f16 v19, v18, s3, v17
	v_sub_f16_e32 v51, v53, v55
	v_sub_f16_e32 v52, v20, v22
	;; [unrolled: 1-line block ×3, first 2 shown]
	v_fma_f16 v17, v18, s0, v17
	v_add_f16_e32 v52, v52, v53
	v_fma_f16 v17, v51, s1, v17
	v_add_f16_e32 v15, v15, v55
	;; [unrolled: 2-line block ×3, first 2 shown]
	v_fma_f16 v19, v51, s4, v19
	v_fma_f16 v17, v17, -0.5, v27
	v_fma_f16 v53, v52, s2, v19
	v_fma_f16 v19, v51, s0, v17
	v_sub_f16_e32 v20, v22, v20
	v_sub_f16_e32 v22, v24, v50
	v_fma_f16 v17, v51, s3, v17
	v_add_f16_e32 v20, v20, v22
	v_fma_f16 v17, v18, s1, v17
	v_fma_f16 v24, v20, s2, v17
	v_mul_f16_e32 v17, 0x38b4, v53
	v_fma_f16 v19, v18, s4, v19
	v_fma_f16 v27, v21, s5, v17
	v_mul_f16_e32 v21, 0xb8b4, v21
	v_fma_f16 v22, v20, s2, v19
	v_fma_f16 v70, v53, s5, v21
	v_mul_f16_e32 v21, 0xbb9c, v54
	v_add_f16_e32 v15, v15, v57
	v_mul_f16_e32 v18, 0x3b9c, v22
	v_fma_f16 v71, v22, s2, v21
	v_mul_f16_e32 v21, 0x34f2, v24
	v_add_f16_e32 v50, v58, v15
	v_fma_f16 v57, v54, s2, v18
	v_mul_f16_e32 v19, 0x34f2, v23
	v_mul_f16_e32 v20, 0x3a79, v56
	v_add_f16_e32 v51, v63, v68
	v_fma_f16 v72, v23, s3, -v21
	v_mul_f16_e32 v21, 0x3a79, v55
	v_add_f16_e32 v17, v62, v27
	v_add_f16_e32 v18, v64, v57
	v_fma_f16 v59, v24, s0, -v19
	v_fma_f16 v69, v55, s1, -v20
	v_add_f16_e32 v52, v65, v70
	v_add_f16_e32 v53, v49, v71
	v_fma_f16 v73, v56, s4, -v21
	v_sub_f16_e32 v21, v58, v15
	v_sub_f16_e32 v22, v62, v27
	;; [unrolled: 1-line block ×3, first 2 shown]
	v_lshl_add_u32 v49, v25, 2, v28
	v_pack_b32_f16 v27, v50, v51
	v_add_f16_e32 v19, v61, v59
	v_add_f16_e32 v20, v60, v69
	;; [unrolled: 1-line block ×4, first 2 shown]
	v_sub_f16_e32 v24, v61, v59
	ds_write_b32 v49, v27
	v_lshl_add_u32 v27, v25, 2, v28
	v_pack_b32_f16 v61, v17, v52
	v_pack_b32_f16 v62, v18, v53
	v_sub_f16_e32 v23, v64, v57
	v_sub_f16_e32 v56, v63, v68
	;; [unrolled: 1-line block ×3, first 2 shown]
	ds_write2_b32 v27, v61, v62 offset0:34 offset1:68
	v_pack_b32_f16 v61, v19, v54
	v_pack_b32_f16 v62, v20, v55
	v_sub_f16_e32 v59, v67, v72
	ds_write2_b32 v27, v61, v62 offset0:102 offset1:136
	v_pack_b32_f16 v61, v21, v56
	v_pack_b32_f16 v62, v22, v57
	v_sub_f16_e32 v15, v60, v69
	v_sub_f16_e32 v60, v66, v73
	ds_write2_b32 v27, v61, v62 offset0:170 offset1:204
	v_pack_b32_f16 v61, v23, v58
	v_pack_b32_f16 v62, v24, v59
	v_add_u32_e32 v63, 0x200, v27
	ds_write2_b32 v63, v61, v62 offset0:110 offset1:144
	v_pack_b32_f16 v61, v15, v60
	ds_write_b32 v27, v61 offset:1224
	s_waitcnt lgkmcnt(0)
	s_barrier
	s_and_saveexec_b64 s[0:1], vcc
	s_cbranch_execz .LBB0_9
; %bb.8:
	global_load_dword v61, v26, s[6:7] offset:1360
	s_add_u32 s2, s6, 0x550
	s_addc_u32 s3, s7, 0
	global_load_dword v73, v26, s[2:3] offset:80
	global_load_dword v74, v26, s[2:3] offset:160
	;; [unrolled: 1-line block ×10, first 2 shown]
	ds_read_b32 v62, v49
	global_load_dword v83, v26, s[2:3] offset:880
	global_load_dword v84, v26, s[2:3] offset:960
	;; [unrolled: 1-line block ×6, first 2 shown]
	s_waitcnt lgkmcnt(0)
	v_lshrrev_b32_e32 v63, 16, v62
	s_waitcnt vmcnt(16)
	v_mul_f16_sdwa v64, v63, v61 dst_sel:DWORD dst_unused:UNUSED_PAD src0_sel:DWORD src1_sel:WORD_1
	v_mul_f16_sdwa v65, v62, v61 dst_sel:DWORD dst_unused:UNUSED_PAD src0_sel:DWORD src1_sel:WORD_1
	v_fma_f16 v62, v62, v61, -v64
	v_fma_f16 v61, v63, v61, v65
	v_pack_b32_f16 v61, v62, v61
	ds_write_b32 v49, v61
	ds_read2_b32 v[61:62], v27 offset0:20 offset1:40
	ds_read2_b32 v[63:64], v27 offset0:60 offset1:80
	;; [unrolled: 1-line block ×6, first 2 shown]
	s_waitcnt lgkmcnt(5)
	v_lshrrev_b32_e32 v89, 16, v61
	s_waitcnt vmcnt(15)
	v_mul_f16_sdwa v90, v61, v73 dst_sel:DWORD dst_unused:UNUSED_PAD src0_sel:DWORD src1_sel:WORD_1
	v_lshrrev_b32_e32 v91, 16, v62
	s_waitcnt vmcnt(14)
	v_mul_f16_sdwa v92, v62, v74 dst_sel:DWORD dst_unused:UNUSED_PAD src0_sel:DWORD src1_sel:WORD_1
	s_waitcnt lgkmcnt(4)
	v_lshrrev_b32_e32 v93, 16, v63
	s_waitcnt vmcnt(13)
	v_mul_f16_sdwa v94, v63, v75 dst_sel:DWORD dst_unused:UNUSED_PAD src0_sel:DWORD src1_sel:WORD_1
	v_lshrrev_b32_e32 v95, 16, v64
	s_waitcnt vmcnt(12)
	v_mul_f16_sdwa v96, v64, v76 dst_sel:DWORD dst_unused:UNUSED_PAD src0_sel:DWORD src1_sel:WORD_1
	;; [unrolled: 7-line block ×3, first 2 shown]
	s_waitcnt lgkmcnt(2)
	v_lshrrev_b32_e32 v101, 16, v67
	s_waitcnt vmcnt(9)
	v_mul_f16_sdwa v102, v67, v79 dst_sel:DWORD dst_unused:UNUSED_PAD src0_sel:DWORD src1_sel:WORD_1
	v_lshrrev_b32_e32 v103, 16, v68
	v_mul_f16_sdwa v108, v89, v73 dst_sel:DWORD dst_unused:UNUSED_PAD src0_sel:DWORD src1_sel:WORD_1
	v_fma_f16 v89, v89, v73, v90
	v_mul_f16_sdwa v90, v91, v74 dst_sel:DWORD dst_unused:UNUSED_PAD src0_sel:DWORD src1_sel:WORD_1
	s_waitcnt vmcnt(8)
	v_mul_f16_sdwa v104, v68, v80 dst_sel:DWORD dst_unused:UNUSED_PAD src0_sel:DWORD src1_sel:WORD_1
	v_fma_f16 v91, v91, v74, v92
	v_mul_f16_sdwa v92, v93, v75 dst_sel:DWORD dst_unused:UNUSED_PAD src0_sel:DWORD src1_sel:WORD_1
	v_fma_f16 v93, v93, v75, v94
	;; [unrolled: 2-line block ×6, first 2 shown]
	v_mul_f16_sdwa v102, v103, v80 dst_sel:DWORD dst_unused:UNUSED_PAD src0_sel:DWORD src1_sel:WORD_1
	v_fma_f16 v61, v61, v73, -v108
	v_fma_f16 v62, v62, v74, -v90
	s_waitcnt lgkmcnt(1)
	v_lshrrev_b32_e32 v105, 16, v69
	s_waitcnt vmcnt(7)
	v_mul_f16_sdwa v106, v69, v81 dst_sel:DWORD dst_unused:UNUSED_PAD src0_sel:DWORD src1_sel:WORD_1
	v_lshrrev_b32_e32 v107, 16, v70
	v_fma_f16 v103, v103, v80, v104
	v_fma_f16 v63, v63, v75, -v92
	v_fma_f16 v64, v64, v76, -v94
	;; [unrolled: 1-line block ×6, first 2 shown]
	v_pack_b32_f16 v61, v61, v89
	v_pack_b32_f16 v62, v62, v91
	v_mul_f16_sdwa v104, v105, v81 dst_sel:DWORD dst_unused:UNUSED_PAD src0_sel:DWORD src1_sel:WORD_1
	v_fma_f16 v105, v105, v81, v106
	s_waitcnt vmcnt(6)
	v_mul_f16_sdwa v106, v107, v82 dst_sel:DWORD dst_unused:UNUSED_PAD src0_sel:DWORD src1_sel:WORD_1
	v_pack_b32_f16 v63, v63, v93
	v_pack_b32_f16 v64, v64, v95
	;; [unrolled: 1-line block ×6, first 2 shown]
	ds_write2_b32 v27, v61, v62 offset0:20 offset1:40
	ds_write2_b32 v27, v63, v64 offset0:60 offset1:80
	;; [unrolled: 1-line block ×4, first 2 shown]
	v_mul_f16_sdwa v61, v70, v82 dst_sel:DWORD dst_unused:UNUSED_PAD src0_sel:DWORD src1_sel:WORD_1
	v_fma_f16 v69, v69, v81, -v104
	v_fma_f16 v73, v70, v82, -v106
	v_fma_f16 v61, v107, v82, v61
	v_pack_b32_f16 v69, v69, v105
	v_pack_b32_f16 v61, v73, v61
	ds_write2_b32 v27, v69, v61 offset0:180 offset1:200
	s_waitcnt lgkmcnt(5)
	v_lshrrev_b32_e32 v61, 16, v71
	s_waitcnt vmcnt(5)
	v_mul_f16_sdwa v62, v61, v83 dst_sel:DWORD dst_unused:UNUSED_PAD src0_sel:DWORD src1_sel:WORD_1
	v_mul_f16_sdwa v63, v71, v83 dst_sel:DWORD dst_unused:UNUSED_PAD src0_sel:DWORD src1_sel:WORD_1
	v_fma_f16 v62, v71, v83, -v62
	v_fma_f16 v61, v61, v83, v63
	v_lshrrev_b32_e32 v64, 16, v72
	v_pack_b32_f16 v63, v62, v61
	s_waitcnt vmcnt(4)
	v_mul_f16_sdwa v61, v64, v84 dst_sel:DWORD dst_unused:UNUSED_PAD src0_sel:DWORD src1_sel:WORD_1
	v_add_u32_e32 v66, 0x400, v27
	v_fma_f16 v65, v72, v84, -v61
	ds_read2_b32 v[61:62], v66 offset0:4 offset1:24
	v_mul_f16_sdwa v67, v72, v84 dst_sel:DWORD dst_unused:UNUSED_PAD src0_sel:DWORD src1_sel:WORD_1
	v_fma_f16 v64, v64, v84, v67
	v_pack_b32_f16 v64, v65, v64
	ds_write2_b32 v27, v63, v64 offset0:220 offset1:240
	s_waitcnt lgkmcnt(1)
	v_lshrrev_b32_e32 v63, 16, v61
	s_waitcnt vmcnt(3)
	v_mul_f16_sdwa v64, v63, v85 dst_sel:DWORD dst_unused:UNUSED_PAD src0_sel:DWORD src1_sel:WORD_1
	v_fma_f16 v64, v61, v85, -v64
	v_mul_f16_sdwa v61, v61, v85 dst_sel:DWORD dst_unused:UNUSED_PAD src0_sel:DWORD src1_sel:WORD_1
	v_lshrrev_b32_e32 v65, 16, v62
	v_fma_f16 v61, v63, v85, v61
	s_waitcnt vmcnt(2)
	v_mul_f16_sdwa v63, v65, v86 dst_sel:DWORD dst_unused:UNUSED_PAD src0_sel:DWORD src1_sel:WORD_1
	v_pack_b32_f16 v61, v64, v61
	v_fma_f16 v67, v62, v86, -v63
	ds_read2_b32 v[63:64], v66 offset0:44 offset1:64
	v_mul_f16_sdwa v62, v62, v86 dst_sel:DWORD dst_unused:UNUSED_PAD src0_sel:DWORD src1_sel:WORD_1
	v_fma_f16 v62, v65, v86, v62
	v_pack_b32_f16 v62, v67, v62
	ds_write2_b32 v66, v61, v62 offset0:4 offset1:24
	s_waitcnt lgkmcnt(1)
	v_lshrrev_b32_e32 v61, 16, v63
	s_waitcnt vmcnt(1)
	v_mul_f16_sdwa v62, v61, v87 dst_sel:DWORD dst_unused:UNUSED_PAD src0_sel:DWORD src1_sel:WORD_1
	v_fma_f16 v62, v63, v87, -v62
	v_mul_f16_sdwa v63, v63, v87 dst_sel:DWORD dst_unused:UNUSED_PAD src0_sel:DWORD src1_sel:WORD_1
	v_fma_f16 v61, v61, v87, v63
	v_pack_b32_f16 v61, v62, v61
	v_lshrrev_b32_e32 v62, 16, v64
	s_waitcnt vmcnt(0)
	v_mul_f16_sdwa v63, v62, v88 dst_sel:DWORD dst_unused:UNUSED_PAD src0_sel:DWORD src1_sel:WORD_1
	v_fma_f16 v63, v64, v88, -v63
	v_mul_f16_sdwa v64, v64, v88 dst_sel:DWORD dst_unused:UNUSED_PAD src0_sel:DWORD src1_sel:WORD_1
	v_fma_f16 v62, v62, v88, v64
	v_pack_b32_f16 v62, v63, v62
	ds_write2_b32 v66, v61, v62 offset0:44 offset1:64
.LBB0_9:
	s_or_b64 exec, exec, s[0:1]
	s_waitcnt lgkmcnt(0)
	s_barrier
	s_and_saveexec_b64 s[0:1], vcc
	s_cbranch_execz .LBB0_11
; %bb.10:
	v_add_u32_e32 v13, 0x400, v49
	ds_read_b32 v50, v49
	ds_read2_b32 v[17:18], v49 offset0:20 offset1:40
	ds_read2_b32 v[19:20], v49 offset0:60 offset1:80
	;; [unrolled: 1-line block ×8, first 2 shown]
	s_waitcnt lgkmcnt(8)
	v_lshrrev_b32_e32 v51, 16, v50
	s_waitcnt lgkmcnt(7)
	v_lshrrev_b32_e32 v52, 16, v17
	v_lshrrev_b32_e32 v53, 16, v18
	s_waitcnt lgkmcnt(6)
	v_lshrrev_b32_e32 v54, 16, v19
	;; [unrolled: 3-line block ×8, first 2 shown]
	v_lshrrev_b32_e32 v36, 16, v14
.LBB0_11:
	s_or_b64 exec, exec, s[0:1]
	s_barrier
	s_and_saveexec_b64 s[0:1], vcc
	s_cbranch_execz .LBB0_13
; %bb.12:
	v_sub_f16_e32 v61, v17, v14
	v_mul_f16_e32 v79, 0xb1e1, v61
	v_add_f16_e32 v84, v36, v52
	s_mov_b32 s2, 0xbbdd
	v_fma_f16 v62, v84, s2, v79
	v_add_f16_e32 v63, v51, v62
	v_sub_f16_e32 v62, v18, v13
	v_mul_f16_e32 v80, 0x35c8, v62
	v_add_f16_e32 v85, v30, v53
	s_movk_i32 s5, 0x3b76
	v_fma_f16 v64, v85, s5, v80
	v_add_f16_e32 v64, v64, v63
	v_sub_f16_e32 v63, v19, v10
	v_mul_f16_e32 v81, 0xb836, v63
	v_add_f16_e32 v86, v31, v54
	s_mov_b32 s4, 0xbacd
	v_fma_f16 v65, v86, s4, v81
	v_add_f16_e32 v64, v65, v64
	v_sub_f16_e32 v65, v20, v9
	v_mul_f16_e32 v82, 0x3964, v65
	v_add_f16_e32 v87, v32, v55
	s_movk_i32 s16, 0x39e9
	v_fma_f16 v66, v87, s16, v82
	v_add_f16_e32 v64, v66, v64
	;; [unrolled: 12-line block ×3, first 2 shown]
	v_sub_f16_e32 v68, v23, v16
	v_mul_f16_e32 v91, 0xbbb2, v68
	v_add_f16_e32 v92, v34, v58
	s_mov_b32 s19, 0xb461
	v_fma_f16 v69, v92, s19, v91
	v_add_f16_e32 v64, v69, v64
	v_sub_f16_e32 v69, v24, v15
	v_mul_f16_e32 v93, 0x3bf7, v69
	v_add_f16_e32 v94, v60, v59
	s_movk_i32 s21, 0x2de8
	v_fma_f16 v70, v94, s21, v93
	v_sub_f16_e32 v95, v52, v36
	v_add_f16_e32 v64, v70, v64
	v_add_f16_e32 v70, v14, v17
	v_mul_f16_e32 v96, 0xb1e1, v95
	v_fma_f16 v79, v84, s2, -v79
	v_fma_f16 v71, v70, s2, -v96
	v_sub_f16_e32 v97, v53, v30
	v_add_f16_e32 v79, v51, v79
	v_fma_f16 v80, v85, s5, -v80
	v_add_f16_e32 v72, v50, v71
	v_add_f16_e32 v71, v13, v18
	v_mul_f16_e32 v98, 0x35c8, v97
	v_add_f16_e32 v79, v80, v79
	v_fma_f16 v80, v86, s4, -v81
	v_fma_f16 v73, v71, s5, -v98
	v_sub_f16_e32 v99, v54, v31
	v_add_f16_e32 v79, v80, v79
	v_fma_f16 v80, v87, s16, -v82
	v_add_f16_e32 v73, v73, v72
	v_add_f16_e32 v72, v10, v19
	v_mul_f16_e32 v100, 0xb836, v99
	v_add_f16_e32 v79, v80, v79
	;; [unrolled: 9-line block ×4, first 2 shown]
	v_fma_f16 v80, v70, s2, v96
	v_fma_f16 v76, v75, s15, -v104
	v_sub_f16_e32 v105, v57, v35
	v_add_f16_e32 v80, v50, v80
	v_fma_f16 v81, v71, s5, v98
	v_add_f16_e32 v74, v76, v74
	v_add_f16_e32 v76, v11, v22
	v_mul_f16_e32 v106, 0x3b29, v105
	v_add_f16_e32 v80, v81, v80
	v_fma_f16 v81, v72, s4, v100
	v_fma_f16 v77, v76, s18, -v106
	v_sub_f16_e32 v107, v58, v34
	v_add_f16_e32 v80, v81, v80
	v_fma_f16 v81, v73, s16, v102
	v_add_f16_e32 v74, v77, v74
	v_add_f16_e32 v77, v16, v23
	v_mul_f16_e32 v108, 0xbbb2, v107
	v_add_f16_e32 v80, v81, v80
	;; [unrolled: 9-line block ×3, first 2 shown]
	v_fma_f16 v81, v77, s19, v108
	v_add_f16_e32 v80, v81, v80
	v_fma_f16 v81, v78, s21, v110
	v_mul_f16_e32 v89, 0xbacd, v84
	s_movk_i32 s27, 0x3836
	v_add_f16_e32 v80, v81, v80
	v_fma_f16 v81, v61, s27, v89
	v_mul_f16_e32 v91, 0x3722, v85
	s_mov_b32 s25, 0xbb29
	s_movk_i32 s29, 0x3bf7
	v_add_f16_e32 v81, v51, v81
	v_fma_f16 v82, v62, s25, v91
	v_mul_f16_e32 v93, 0x2de8, v86
	s_mov_b32 s17, 0xba62
	v_add_f16_e32 v81, v82, v81
	v_fma_f16 v82, v63, s29, v93
	v_mul_f16_e32 v96, 0xb8d2, v87
	s_movk_i32 s20, 0x35c8
	v_add_f16_e32 v81, v82, v81
	v_fma_f16 v82, v65, s17, v96
	v_mul_f16_e32 v98, 0x3b76, v88
	v_add_f16_e32 v81, v82, v81
	v_fma_f16 v82, v66, s20, v98
	v_mul_f16_e32 v100, 0xbbdd, v90
	s_movk_i32 s33, 0x31e1
	v_add_f16_e32 v81, v82, v81
	v_fma_f16 v82, v67, s33, v100
	v_mul_f16_e32 v102, 0x39e9, v92
	s_mov_b32 s26, 0xb964
	v_add_f16_e32 v81, v82, v81
	v_fma_f16 v82, v68, s26, v102
	v_mul_f16_e32 v104, 0xb461, v94
	s_movk_i32 s31, 0x3bb2
	v_add_f16_e32 v81, v82, v81
	v_fma_f16 v82, v69, s31, v104
	v_mul_f16_e32 v106, 0xb836, v95
	v_add_f16_e32 v81, v82, v81
	v_fma_f16 v82, v70, s4, v106
	v_mul_f16_e32 v108, 0x3b29, v97
	v_fma_f16 v111, v78, s21, -v110
	v_add_f16_e32 v82, v50, v82
	v_fma_f16 v83, v71, s18, v108
	v_mul_f16_e32 v110, 0xbbf7, v99
	v_add_f16_e32 v74, v111, v74
	v_add_f16_e32 v82, v83, v82
	v_fma_f16 v83, v72, s21, v110
	v_mul_f16_e32 v111, 0x3a62, v101
	v_add_f16_e32 v82, v83, v82
	v_fma_f16 v83, v73, s15, v111
	v_mul_f16_e32 v112, 0xb5c8, v103
	;; [unrolled: 3-line block ×5, first 2 shown]
	s_movk_i32 s34, 0x3a62
	v_add_f16_e32 v82, v83, v82
	v_fma_f16 v83, v78, s19, v115
	v_mul_f16_e32 v116, 0xb8d2, v84
	s_mov_b32 s22, 0xbbb2
	v_add_f16_e32 v82, v83, v82
	v_fma_f16 v83, v61, s34, v116
	v_mul_f16_e32 v117, 0xb461, v85
	v_add_f16_e32 v83, v51, v83
	v_fma_f16 v118, v62, s22, v117
	v_add_f16_e32 v83, v118, v83
	v_mul_f16_e32 v118, 0x3b76, v86
	v_fma_f16 v119, v63, s20, v118
	v_add_f16_e32 v83, v119, v83
	v_mul_f16_e32 v119, 0xbacd, v87
	v_fma_f16 v120, v65, s27, v119
	s_mov_b32 s28, 0xbbf7
	v_add_f16_e32 v83, v120, v83
	v_mul_f16_e32 v120, 0x2de8, v88
	v_fma_f16 v121, v66, s28, v120
	s_movk_i32 s24, 0x3964
	v_add_f16_e32 v83, v121, v83
	v_mul_f16_e32 v121, 0x39e9, v90
	v_fma_f16 v122, v67, s24, v121
	v_add_f16_e32 v83, v122, v83
	v_mul_f16_e32 v122, 0xbbdd, v92
	v_fma_f16 v123, v68, s33, v122
	;; [unrolled: 3-line block ×4, first 2 shown]
	v_mul_f16_e32 v126, 0x3bb2, v97
	v_add_f16_e32 v125, v50, v125
	v_fma_f16 v127, v71, s19, v126
	v_add_f16_e32 v125, v127, v125
	v_mul_f16_e32 v127, 0xb5c8, v99
	v_fma_f16 v128, v72, s5, v127
	v_add_f16_e32 v125, v128, v125
	v_mul_f16_e32 v128, 0xb836, v101
	v_fma_f16 v129, v73, s4, v128
	v_add_f16_e32 v125, v129, v125
	v_mul_f16_e32 v129, 0x3bf7, v103
	v_fma_f16 v130, v75, s21, v129
	v_add_f16_e32 v125, v130, v125
	v_mul_f16_e32 v130, 0xb964, v105
	v_fma_f16 v131, v76, s16, v130
	v_add_f16_e32 v125, v131, v125
	v_mul_f16_e32 v131, 0xb1e1, v107
	v_fma_f16 v132, v77, s2, v131
	v_add_f16_e32 v125, v132, v125
	v_mul_f16_e32 v132, 0x3b29, v109
	v_fma_f16 v133, v78, s18, v132
	v_add_f16_e32 v125, v133, v125
	v_mul_f16_e32 v133, 0xb461, v84
	s_mov_b32 s14, 0xb836
	v_fma_f16 v134, v61, s31, v133
	v_mul_f16_e32 v135, 0xbacd, v85
	v_add_f16_e32 v134, v51, v134
	v_fma_f16 v136, v62, s14, v135
	v_add_f16_e32 v134, v136, v134
	v_mul_f16_e32 v136, 0x39e9, v86
	v_fma_f16 v137, v63, s26, v136
	s_movk_i32 s23, 0x3b29
	v_add_f16_e32 v134, v137, v134
	v_mul_f16_e32 v137, 0x3722, v87
	v_fma_f16 v138, v65, s23, v137
	v_add_f16_e32 v134, v138, v134
	v_mul_f16_e32 v138, 0xbbdd, v88
	v_fma_f16 v139, v66, s33, v138
	;; [unrolled: 3-line block ×6, first 2 shown]
	v_mul_f16_e32 v144, 0x3836, v97
	v_add_f16_e32 v143, v50, v143
	v_fma_f16 v145, v71, s4, v144
	v_add_f16_e32 v143, v145, v143
	v_mul_f16_e32 v145, 0x3964, v99
	v_fma_f16 v146, v72, s16, v145
	v_add_f16_e32 v143, v146, v143
	v_mul_f16_e32 v146, 0xbb29, v101
	v_add_f16_e32 v17, v17, v50
	v_fma_f16 v147, v73, s18, v146
	v_add_f16_e32 v17, v18, v17
	v_add_f16_e32 v143, v147, v143
	v_mul_f16_e32 v147, 0xb1e1, v103
	v_add_f16_e32 v17, v19, v17
	v_fma_f16 v148, v75, s2, v147
	v_add_f16_e32 v17, v20, v17
	;; [unrolled: 5-line block ×5, first 2 shown]
	v_add_f16_e32 v143, v151, v143
	v_mul_f16_e32 v151, 0x2de8, v84
	v_add_f16_e32 v11, v11, v15
	v_fma_f16 v152, v61, s29, v151
	v_mul_f16_e32 v153, 0xbbdd, v85
	v_add_f16_e32 v11, v12, v11
	v_add_f16_e32 v152, v51, v152
	v_fma_f16 v154, v62, s33, v153
	v_add_f16_e32 v9, v9, v11
	v_fma_f16 v11, v61, s14, v89
	v_add_f16_e32 v152, v154, v152
	v_mul_f16_e32 v154, 0xb461, v86
	v_add_f16_e32 v11, v51, v11
	v_fma_f16 v12, v62, s23, v91
	v_fma_f16 v155, v63, s22, v154
	v_add_f16_e32 v11, v12, v11
	v_fma_f16 v12, v63, s28, v93
	s_mov_b32 s30, 0xb5c8
	v_add_f16_e32 v152, v155, v152
	v_mul_f16_e32 v155, 0x3b76, v87
	v_add_f16_e32 v11, v12, v11
	v_fma_f16 v12, v65, s34, v96
	s_mov_b32 s3, 0xb1e1
	v_fma_f16 v156, v65, s30, v155
	v_add_f16_e32 v11, v12, v11
	v_fma_f16 v12, v66, s30, v98
	v_add_f16_e32 v152, v156, v152
	v_mul_f16_e32 v156, 0x3722, v88
	v_add_f16_e32 v11, v12, v11
	v_fma_f16 v12, v67, s3, v100
	v_fma_f16 v157, v66, s23, v156
	v_add_f16_e32 v11, v12, v11
	v_fma_f16 v12, v68, s24, v102
	v_add_f16_e32 v152, v157, v152
	v_mul_f16_e32 v157, 0xbacd, v90
	v_add_f16_e32 v11, v12, v11
	v_fma_f16 v12, v69, s22, v104
	v_fma_f16 v158, v67, s27, v157
	v_add_f16_e32 v9, v10, v9
	v_add_f16_e32 v11, v12, v11
	v_fma_f16 v12, v70, s4, -v106
	v_add_f16_e32 v152, v158, v152
	v_mul_f16_e32 v158, 0xb8d2, v92
	v_add_f16_e32 v9, v13, v9
	v_add_f16_e32 v12, v50, v12
	v_fma_f16 v13, v71, s18, -v108
	v_fma_f16 v159, v68, s17, v158
	v_add_f16_e32 v12, v13, v12
	v_fma_f16 v13, v72, s21, -v110
	v_add_f16_e32 v152, v159, v152
	v_mul_f16_e32 v159, 0x39e9, v94
	v_add_f16_e32 v12, v13, v12
	v_fma_f16 v13, v73, s15, -v111
	v_fma_f16 v160, v69, s26, v159
	v_add_f16_e32 v12, v13, v12
	v_fma_f16 v13, v75, s5, -v112
	v_add_f16_e32 v152, v160, v152
	v_mul_f16_e32 v160, 0xbbf7, v95
	v_add_f16_e32 v12, v13, v12
	v_fma_f16 v13, v76, s2, -v113
	v_fma_f16 v161, v70, s21, v160
	v_mul_f16_e32 v162, 0xb1e1, v97
	v_add_f16_e32 v12, v13, v12
	v_fma_f16 v13, v77, s16, -v114
	v_add_f16_e32 v161, v50, v161
	v_fma_f16 v163, v71, s2, v162
	v_add_f16_e32 v12, v13, v12
	v_fma_f16 v13, v78, s19, -v115
	v_add_f16_e32 v161, v163, v161
	v_mul_f16_e32 v163, 0x3bb2, v99
	v_add_f16_e32 v12, v13, v12
	v_fma_f16 v13, v61, s17, v116
	v_fma_f16 v164, v72, s19, v163
	v_add_f16_e32 v9, v14, v9
	v_add_f16_e32 v13, v51, v13
	v_fma_f16 v14, v62, s31, v117
	v_add_f16_e32 v161, v164, v161
	v_mul_f16_e32 v164, 0x35c8, v101
	v_add_f16_e32 v13, v14, v13
	v_fma_f16 v14, v63, s30, v118
	v_fma_f16 v165, v73, s5, v164
	v_add_f16_e32 v13, v14, v13
	v_fma_f16 v14, v65, s14, v119
	v_add_f16_e32 v161, v165, v161
	v_mul_f16_e32 v165, 0xbb29, v103
	v_add_f16_e32 v13, v14, v13
	v_fma_f16 v14, v66, s29, v120
	v_fma_f16 v166, v75, s18, v165
	;; [unrolled: 7-line block ×3, first 2 shown]
	v_add_f16_e32 v13, v14, v13
	v_fma_f16 v14, v69, s23, v123
	v_add_f16_e32 v161, v167, v161
	v_mul_f16_e32 v167, 0x3a62, v107
	v_add_f16_e32 v13, v14, v13
	v_fma_f16 v14, v70, s15, -v124
	v_fma_f16 v168, v77, s15, v167
	v_add_f16_e32 v14, v50, v14
	v_fma_f16 v15, v71, s19, -v126
	v_add_f16_e32 v161, v168, v161
	v_mul_f16_e32 v168, 0x3964, v109
	v_add_f16_e32 v14, v15, v14
	v_fma_f16 v15, v72, s5, -v127
	v_fma_f16 v169, v78, s16, v168
	v_add_f16_e32 v14, v15, v14
	v_fma_f16 v15, v73, s4, -v128
	v_add_f16_e32 v161, v169, v161
	v_mul_f16_e32 v169, 0x3722, v84
	v_add_f16_e32 v14, v15, v14
	v_fma_f16 v15, v75, s21, -v129
	v_fma_f16 v170, v61, s23, v169
	v_mul_f16_e32 v171, 0xb8d2, v85
	v_add_f16_e32 v14, v15, v14
	v_fma_f16 v15, v76, s16, -v130
	v_add_f16_e32 v170, v51, v170
	v_fma_f16 v172, v62, s34, v171
	v_add_f16_e32 v14, v15, v14
	v_fma_f16 v15, v77, s2, -v131
	v_add_f16_e32 v170, v172, v170
	v_mul_f16_e32 v172, 0xbbdd, v86
	v_add_f16_e32 v14, v15, v14
	v_fma_f16 v15, v78, s18, -v132
	v_fma_f16 v173, v63, s3, v172
	v_add_f16_e32 v14, v15, v14
	v_fma_f16 v15, v61, s22, v133
	v_add_f16_e32 v170, v173, v170
	v_mul_f16_e32 v173, 0xb461, v87
	v_add_f16_e32 v15, v51, v15
	v_fma_f16 v16, v62, s27, v135
	v_fma_f16 v174, v65, s22, v173
	v_add_f16_e32 v15, v16, v15
	v_fma_f16 v16, v63, s24, v136
	v_add_f16_e32 v170, v174, v170
	v_mul_f16_e32 v174, 0x39e9, v88
	v_add_f16_e32 v15, v16, v15
	v_fma_f16 v16, v65, s25, v137
	;; [unrolled: 7-line block ×4, first 2 shown]
	v_fma_f16 v177, v68, s29, v176
	v_add_f16_e32 v15, v16, v15
	v_fma_f16 v16, v70, s19, -v142
	v_add_f16_e32 v170, v177, v170
	v_mul_f16_e32 v177, 0xbacd, v94
	v_add_f16_e32 v16, v50, v16
	v_fma_f16 v17, v71, s4, -v144
	v_fma_f16 v178, v69, s27, v177
	v_add_f16_e32 v16, v17, v16
	v_fma_f16 v17, v72, s16, -v145
	v_add_f16_e32 v170, v178, v170
	v_mul_f16_e32 v178, 0xbb29, v95
	v_add_f16_e32 v16, v17, v16
	v_fma_f16 v17, v73, s18, -v146
	v_fma_f16 v179, v70, s18, v178
	v_mul_f16_e32 v180, 0xba62, v97
	v_add_f16_e32 v16, v17, v16
	v_fma_f16 v17, v75, s2, -v147
	v_add_f16_e32 v179, v50, v179
	v_fma_f16 v181, v71, s15, v180
	v_add_f16_e32 v16, v17, v16
	v_fma_f16 v17, v76, s21, -v148
	v_add_f16_e32 v179, v181, v179
	v_mul_f16_e32 v181, 0x31e1, v99
	v_add_f16_e32 v16, v17, v16
	v_fma_f16 v17, v77, s5, -v149
	v_fma_f16 v182, v72, s2, v181
	v_add_f16_e32 v16, v17, v16
	v_fma_f16 v17, v78, s15, -v150
	v_add_f16_e32 v179, v182, v179
	v_mul_f16_e32 v182, 0x3bb2, v101
	v_add_f16_e32 v16, v17, v16
	v_fma_f16 v17, v61, s28, v151
	v_fma_f16 v183, v73, s19, v182
	v_add_f16_e32 v17, v51, v17
	v_fma_f16 v18, v62, s3, v153
	v_add_f16_e32 v179, v183, v179
	v_mul_f16_e32 v183, 0x3964, v103
	v_add_f16_e32 v17, v18, v17
	v_fma_f16 v18, v63, s31, v154
	v_fma_f16 v184, v75, s16, v183
	v_add_f16_e32 v17, v18, v17
	v_fma_f16 v18, v65, s20, v155
	;; [unrolled: 7-line block ×4, first 2 shown]
	v_add_f16_e32 v179, v186, v179
	v_mul_f16_e32 v186, 0xb836, v109
	v_add_f16_e32 v17, v18, v17
	v_fma_f16 v18, v70, s21, -v160
	v_fma_f16 v187, v78, s4, v186
	v_add_f16_e32 v18, v50, v18
	v_fma_f16 v19, v71, s2, -v162
	v_add_f16_e32 v179, v187, v179
	v_mul_f16_e32 v187, 0x39e9, v84
	v_add_f16_e32 v18, v19, v18
	v_fma_f16 v19, v72, s19, -v163
	v_fma_f16 v188, v61, s24, v187
	v_mul_f16_e32 v189, 0x2de8, v85
	v_add_f16_e32 v18, v19, v18
	v_fma_f16 v19, v73, s5, -v164
	v_add_f16_e32 v188, v51, v188
	v_fma_f16 v190, v62, s29, v189
	v_add_f16_e32 v18, v19, v18
	v_fma_f16 v19, v75, s18, -v165
	v_add_f16_e32 v188, v190, v188
	v_mul_f16_e32 v190, 0xb8d2, v86
	v_add_f16_e32 v18, v19, v18
	v_fma_f16 v19, v76, s4, -v166
	v_fma_f16 v191, v63, s34, v190
	v_add_f16_e32 v18, v19, v18
	v_fma_f16 v19, v77, s15, -v167
	v_add_f16_e32 v188, v191, v188
	v_mul_f16_e32 v191, 0xbbdd, v87
	v_add_f16_e32 v18, v19, v18
	v_fma_f16 v19, v78, s16, -v168
	v_fma_f16 v192, v65, s33, v191
	v_add_f16_e32 v18, v19, v18
	v_fma_f16 v19, v61, s25, v169
	v_add_f16_e32 v188, v192, v188
	v_mul_f16_e32 v192, 0xbacd, v88
	v_add_f16_e32 v19, v51, v19
	v_fma_f16 v20, v62, s17, v171
	v_fma_f16 v193, v66, s14, v192
	v_add_f16_e32 v19, v20, v19
	v_fma_f16 v20, v63, s33, v172
	v_add_f16_e32 v188, v193, v188
	v_mul_f16_e32 v193, 0xb461, v90
	v_add_f16_e32 v19, v20, v19
	v_fma_f16 v20, v65, s31, v173
	;; [unrolled: 7-line block ×4, first 2 shown]
	v_fma_f16 v196, v69, s30, v195
	v_add_f16_e32 v19, v20, v19
	v_fma_f16 v20, v70, s18, -v178
	v_add_f16_e32 v188, v196, v188
	v_mul_f16_e32 v196, 0xb964, v95
	v_add_f16_e32 v20, v50, v20
	v_fma_f16 v21, v71, s15, -v180
	v_fma_f16 v197, v70, s16, v196
	v_mul_f16_e32 v198, 0xbbf7, v97
	v_add_f16_e32 v20, v21, v20
	v_fma_f16 v21, v72, s2, -v181
	v_add_f16_e32 v197, v50, v197
	v_fma_f16 v199, v71, s21, v198
	v_add_f16_e32 v20, v21, v20
	v_fma_f16 v21, v73, s19, -v182
	v_add_f16_e32 v197, v199, v197
	v_mul_f16_e32 v199, 0xba62, v99
	v_add_f16_e32 v20, v21, v20
	v_fma_f16 v21, v75, s16, -v183
	v_fma_f16 v200, v72, s15, v199
	v_add_f16_e32 v20, v21, v20
	v_fma_f16 v21, v76, s5, -v184
	v_add_f16_e32 v197, v200, v197
	v_mul_f16_e32 v200, 0xb1e1, v101
	v_add_f16_e32 v20, v21, v20
	v_fma_f16 v21, v77, s21, -v185
	v_fma_f16 v201, v73, s2, v200
	v_add_f16_e32 v20, v21, v20
	v_fma_f16 v21, v78, s4, -v186
	v_add_f16_e32 v197, v201, v197
	v_mul_f16_e32 v201, 0x3836, v103
	v_add_f16_e32 v20, v21, v20
	v_fma_f16 v21, v61, s26, v187
	v_fma_f16 v202, v75, s4, v201
	v_add_f16_e32 v21, v51, v21
	v_fma_f16 v22, v62, s28, v189
	v_add_f16_e32 v197, v202, v197
	v_mul_f16_e32 v202, 0x3bb2, v105
	v_add_f16_e32 v21, v22, v21
	v_fma_f16 v22, v63, s17, v190
	v_fma_f16 v203, v76, s19, v202
	v_add_f16_e32 v21, v22, v21
	v_fma_f16 v22, v65, s3, v191
	;; [unrolled: 7-line block ×3, first 2 shown]
	v_add_f16_e32 v197, v204, v197
	v_mul_f16_e32 v204, 0x35c8, v109
	v_add_f16_e32 v21, v22, v21
	v_fma_f16 v22, v68, s23, v194
	v_fma_f16 v205, v78, s5, v204
	v_mul_f16_e32 v84, 0x3b76, v84
	v_add_f16_e32 v21, v22, v21
	v_fma_f16 v22, v69, s20, v195
	v_add_f16_e32 v197, v205, v197
	v_fma_f16 v205, v61, s20, v84
	v_mul_f16_e32 v85, 0x39e9, v85
	v_add_f16_e32 v21, v22, v21
	v_fma_f16 v22, v70, s16, -v196
	v_add_f16_e32 v205, v51, v205
	v_fma_f16 v206, v62, s24, v85
	v_mul_f16_e32 v86, 0x3722, v86
	v_add_f16_e32 v10, v52, v51
	v_add_f16_e32 v22, v50, v22
	v_fma_f16 v23, v71, s21, -v198
	v_add_f16_e32 v205, v206, v205
	v_fma_f16 v206, v63, s23, v86
	v_mul_f16_e32 v87, 0x2de8, v87
	v_add_f16_e32 v10, v53, v10
	;; [unrolled: 6-line block ×8, first 2 shown]
	v_add_f16_e32 v22, v23, v22
	v_fma_f16 v23, v61, s30, v84
	v_add_f16_e32 v206, v50, v206
	v_fma_f16 v207, v71, s16, v97
	v_mul_f16_e32 v99, 0xbb29, v99
	v_add_f16_e32 v10, v60, v10
	v_add_f16_e32 v23, v51, v23
	v_fma_f16 v24, v62, s26, v85
	v_add_f16_e32 v206, v207, v206
	v_fma_f16 v207, v72, s18, v99
	v_mul_f16_e32 v101, 0xbbf7, v101
	v_add_f16_e32 v10, v34, v10
	;; [unrolled: 6-line block ×6, first 2 shown]
	v_add_f16_e32 v23, v24, v23
	v_fma_f16 v24, v68, s14, v92
	v_add_f16_e32 v206, v207, v206
	v_fma_f16 v207, v78, s2, v109
	v_add_f16_e32 v10, v30, v10
	v_add_f16_e32 v23, v24, v23
	v_fma_f16 v24, v69, s3, v94
	v_add_f16_e32 v206, v207, v206
	v_add_f16_e32 v10, v36, v10
	;; [unrolled: 1-line block ×3, first 2 shown]
	v_fma_f16 v24, v70, s5, -v95
	v_add_f16_e32 v24, v50, v24
	v_fma_f16 v30, v71, s16, -v97
	v_lshl_add_u32 v28, v29, 2, v28
	v_pack_b32_f16 v29, v206, v205
	v_pack_b32_f16 v9, v9, v10
	v_add_f16_e32 v24, v30, v24
	v_fma_f16 v30, v72, s18, -v99
	ds_write2_b32 v28, v9, v29 offset1:1
	v_pack_b32_f16 v9, v179, v170
	v_pack_b32_f16 v10, v197, v188
	v_add_f16_e32 v24, v30, v24
	v_fma_f16 v30, v73, s21, -v101
	ds_write2_b32 v28, v10, v9 offset0:2 offset1:3
	v_pack_b32_f16 v9, v143, v134
	v_pack_b32_f16 v10, v161, v152
	v_add_f16_e32 v24, v30, v24
	v_fma_f16 v30, v75, s19, -v103
	ds_write2_b32 v28, v10, v9 offset0:4 offset1:5
	v_pack_b32_f16 v9, v82, v81
	v_pack_b32_f16 v10, v125, v83
	v_add_f16_e32 v24, v30, v24
	v_fma_f16 v30, v76, s15, -v105
	ds_write2_b32 v28, v10, v9 offset0:6 offset1:7
	v_pack_b32_f16 v9, v74, v64
	v_pack_b32_f16 v10, v80, v79
	v_add_f16_e32 v24, v30, v24
	v_fma_f16 v30, v77, s4, -v107
	ds_write2_b32 v28, v10, v9 offset0:8 offset1:9
	v_pack_b32_f16 v9, v14, v13
	v_pack_b32_f16 v10, v12, v11
	v_add_f16_e32 v24, v30, v24
	v_fma_f16 v30, v78, s2, -v109
	ds_write2_b32 v28, v10, v9 offset0:10 offset1:11
	v_pack_b32_f16 v9, v18, v17
	v_pack_b32_f16 v10, v16, v15
	v_add_f16_e32 v24, v30, v24
	ds_write2_b32 v28, v10, v9 offset0:12 offset1:13
	v_pack_b32_f16 v9, v22, v21
	v_pack_b32_f16 v10, v20, v19
	ds_write2_b32 v28, v10, v9 offset0:14 offset1:15
	v_pack_b32_f16 v9, v24, v23
	ds_write_b32 v28, v9 offset:64
.LBB0_13:
	s_or_b64 exec, exec, s[0:1]
	s_waitcnt lgkmcnt(0)
	s_barrier
	ds_read2_b32 v[9:10], v37 offset1:34
	ds_read2_b32 v[11:12], v37 offset0:136 offset1:170
	ds_read2_b32 v[13:14], v37 offset0:204 offset1:238
	;; [unrolled: 1-line block ×3, first 2 shown]
	v_add_u32_e32 v22, 0x400, v37
	ds_read2_b32 v[17:18], v22 offset0:16 offset1:50
	s_waitcnt lgkmcnt(4)
	v_lshrrev_b32_e32 v19, 16, v9
	s_waitcnt lgkmcnt(3)
	v_lshrrev_b32_e32 v20, 16, v12
	v_mul_f16_sdwa v33, v42, v20 dst_sel:DWORD dst_unused:UNUSED_PAD src0_sel:WORD_1 src1_sel:DWORD
	s_waitcnt lgkmcnt(2)
	v_lshrrev_b32_e32 v23, 16, v13
	v_fma_f16 v33, v42, v12, v33
	v_mul_f16_sdwa v12, v42, v12 dst_sel:DWORD dst_unused:UNUSED_PAD src0_sel:WORD_1 src1_sel:DWORD
	v_fma_f16 v12, v42, v20, -v12
	v_mul_f16_sdwa v20, v41, v23 dst_sel:DWORD dst_unused:UNUSED_PAD src0_sel:WORD_1 src1_sel:DWORD
	v_lshrrev_b32_e32 v28, 16, v14
	v_fma_f16 v20, v41, v13, v20
	v_mul_f16_sdwa v13, v41, v13 dst_sel:DWORD dst_unused:UNUSED_PAD src0_sel:WORD_1 src1_sel:DWORD
	v_fma_f16 v13, v41, v23, -v13
	v_mul_f16_sdwa v23, v40, v28 dst_sel:DWORD dst_unused:UNUSED_PAD src0_sel:WORD_1 src1_sel:DWORD
	s_waitcnt lgkmcnt(0)
	v_lshrrev_b32_e32 v30, 16, v17
	v_fma_f16 v23, v40, v14, v23
	v_mul_f16_sdwa v14, v40, v14 dst_sel:DWORD dst_unused:UNUSED_PAD src0_sel:WORD_1 src1_sel:DWORD
	v_fma_f16 v14, v40, v28, -v14
	v_mul_f16_sdwa v28, v39, v30 dst_sel:DWORD dst_unused:UNUSED_PAD src0_sel:WORD_1 src1_sel:DWORD
	v_lshrrev_b32_e32 v32, 16, v18
	v_fma_f16 v28, v39, v17, v28
	v_mul_f16_sdwa v17, v39, v17 dst_sel:DWORD dst_unused:UNUSED_PAD src0_sel:WORD_1 src1_sel:DWORD
	v_fma_f16 v17, v39, v30, -v17
	v_mul_f16_sdwa v30, v38, v32 dst_sel:DWORD dst_unused:UNUSED_PAD src0_sel:WORD_1 src1_sel:DWORD
	v_fma_f16 v30, v38, v18, v30
	v_mul_f16_sdwa v18, v38, v18 dst_sel:DWORD dst_unused:UNUSED_PAD src0_sel:WORD_1 src1_sel:DWORD
	v_lshrrev_b32_e32 v21, 16, v10
	v_fma_f16 v18, v38, v32, -v18
	v_sub_f16_e32 v32, v9, v33
	v_sub_f16_e32 v12, v19, v12
	v_lshrrev_b32_e32 v24, 16, v15
	v_fma_f16 v9, v9, 2.0, -v32
	v_fma_f16 v19, v19, 2.0, -v12
	v_sub_f16_e32 v20, v10, v20
	v_sub_f16_e32 v13, v21, v13
	v_lshrrev_b32_e32 v29, 16, v16
	v_fma_f16 v10, v10, 2.0, -v20
	v_fma_f16 v21, v21, 2.0, -v13
	v_sub_f16_e32 v23, v15, v23
	v_sub_f16_e32 v14, v24, v14
	v_pack_b32_f16 v9, v9, v19
	v_pack_b32_f16 v12, v32, v12
	v_lshrrev_b32_e32 v31, 16, v11
	v_fma_f16 v15, v15, 2.0, -v23
	v_fma_f16 v24, v24, 2.0, -v14
	v_sub_f16_e32 v28, v16, v28
	v_sub_f16_e32 v17, v29, v17
	s_barrier
	ds_write2_b32 v43, v9, v12 offset1:17
	v_pack_b32_f16 v9, v10, v21
	v_pack_b32_f16 v10, v20, v13
	v_fma_f16 v16, v16, 2.0, -v28
	v_fma_f16 v29, v29, 2.0, -v17
	v_sub_f16_e32 v30, v11, v30
	v_sub_f16_e32 v18, v31, v18
	ds_write2_b32 v44, v9, v10 offset1:17
	v_pack_b32_f16 v9, v15, v24
	v_pack_b32_f16 v10, v23, v14
	v_fma_f16 v11, v11, 2.0, -v30
	v_fma_f16 v31, v31, 2.0, -v18
	ds_write2_b32 v45, v9, v10 offset1:17
	v_pack_b32_f16 v9, v16, v29
	v_pack_b32_f16 v10, v28, v17
	ds_write2_b32 v46, v9, v10 offset1:17
	v_pack_b32_f16 v9, v11, v31
	v_pack_b32_f16 v10, v30, v18
	ds_write2_b32 v48, v9, v10 offset1:17
	s_waitcnt lgkmcnt(0)
	s_barrier
	ds_read2_b32 v[9:10], v37 offset1:34
	ds_read2_b32 v[11:12], v37 offset0:68 offset1:102
	ds_read2_b32 v[13:14], v37 offset0:136 offset1:170
	;; [unrolled: 1-line block ×4, first 2 shown]
	s_waitcnt lgkmcnt(4)
	v_lshrrev_b32_e32 v20, 16, v10
	v_mul_f16_sdwa v32, v0, v20 dst_sel:DWORD dst_unused:UNUSED_PAD src0_sel:WORD_1 src1_sel:DWORD
	s_waitcnt lgkmcnt(3)
	v_lshrrev_b32_e32 v21, 16, v11
	v_fma_f16 v32, v0, v10, v32
	v_mul_f16_sdwa v10, v0, v10 dst_sel:DWORD dst_unused:UNUSED_PAD src0_sel:WORD_1 src1_sel:DWORD
	v_fma_f16 v0, v0, v20, -v10
	v_mul_f16_sdwa v10, v1, v21 dst_sel:DWORD dst_unused:UNUSED_PAD src0_sel:WORD_1 src1_sel:DWORD
	v_lshrrev_b32_e32 v23, 16, v12
	v_fma_f16 v10, v1, v11, v10
	v_mul_f16_sdwa v11, v1, v11 dst_sel:DWORD dst_unused:UNUSED_PAD src0_sel:WORD_1 src1_sel:DWORD
	v_fma_f16 v1, v1, v21, -v11
	v_mul_f16_sdwa v11, v2, v23 dst_sel:DWORD dst_unused:UNUSED_PAD src0_sel:WORD_1 src1_sel:DWORD
	s_waitcnt lgkmcnt(2)
	v_lshrrev_b32_e32 v22, 16, v13
	v_fma_f16 v11, v2, v12, v11
	v_mul_f16_sdwa v12, v2, v12 dst_sel:DWORD dst_unused:UNUSED_PAD src0_sel:WORD_1 src1_sel:DWORD
	v_fma_f16 v2, v2, v23, -v12
	v_mul_f16_sdwa v12, v3, v22 dst_sel:DWORD dst_unused:UNUSED_PAD src0_sel:WORD_1 src1_sel:DWORD
	v_lshrrev_b32_e32 v24, 16, v14
	v_fma_f16 v12, v3, v13, v12
	v_mul_f16_sdwa v13, v3, v13 dst_sel:DWORD dst_unused:UNUSED_PAD src0_sel:WORD_1 src1_sel:DWORD
	v_fma_f16 v3, v3, v22, -v13
	;; [unrolled: 11-line block ×3, first 2 shown]
	v_mul_f16_sdwa v15, v6, v29 dst_sel:DWORD dst_unused:UNUSED_PAD src0_sel:WORD_1 src1_sel:DWORD
	s_waitcnt lgkmcnt(0)
	v_lshrrev_b32_e32 v30, 16, v17
	v_fma_f16 v15, v6, v16, v15
	v_mul_f16_sdwa v16, v6, v16 dst_sel:DWORD dst_unused:UNUSED_PAD src0_sel:WORD_1 src1_sel:DWORD
	v_fma_f16 v6, v6, v29, -v16
	v_mul_f16_sdwa v16, v7, v30 dst_sel:DWORD dst_unused:UNUSED_PAD src0_sel:WORD_1 src1_sel:DWORD
	v_fma_f16 v16, v7, v17, v16
	v_mul_f16_sdwa v17, v7, v17 dst_sel:DWORD dst_unused:UNUSED_PAD src0_sel:WORD_1 src1_sel:DWORD
	v_fma_f16 v7, v7, v30, -v17
	v_add_f16_e32 v21, v12, v14
	v_fma_f16 v21, v21, -0.5, v9
	v_sub_f16_e32 v22, v1, v7
	s_mov_b32 s0, 0xbb9c
	s_movk_i32 s3, 0x3b9c
	v_fma_f16 v23, v22, s0, v21
	v_sub_f16_e32 v24, v3, v5
	s_mov_b32 s1, 0xb8b4
	v_sub_f16_e32 v28, v10, v12
	v_sub_f16_e32 v29, v16, v14
	v_fma_f16 v21, v22, s3, v21
	s_movk_i32 s4, 0x38b4
	v_fma_f16 v23, v24, s1, v23
	v_add_f16_e32 v28, v28, v29
	s_movk_i32 s2, 0x34f2
	v_fma_f16 v21, v24, s4, v21
	v_fma_f16 v23, v28, s2, v23
	;; [unrolled: 1-line block ×3, first 2 shown]
	v_add_f16_e32 v28, v10, v16
	v_lshrrev_b32_e32 v19, 16, v9
	v_add_f16_e32 v20, v9, v10
	v_fma_f16 v9, v28, -0.5, v9
	v_add_f16_e32 v20, v20, v12
	v_fma_f16 v28, v24, s3, v9
	v_fma_f16 v9, v24, s0, v9
	v_add_f16_e32 v24, v3, v5
	v_add_f16_e32 v20, v20, v14
	v_sub_f16_e32 v29, v12, v10
	v_sub_f16_e32 v30, v14, v16
	v_fma_f16 v24, v24, -0.5, v19
	v_sub_f16_e32 v10, v10, v16
	v_add_f16_e32 v20, v20, v16
	v_fma_f16 v28, v22, s1, v28
	v_add_f16_e32 v29, v29, v30
	v_fma_f16 v9, v22, s4, v9
	v_fma_f16 v16, v10, s3, v24
	v_sub_f16_e32 v12, v12, v14
	v_fma_f16 v28, v29, s2, v28
	v_fma_f16 v9, v29, s2, v9
	;; [unrolled: 1-line block ×3, first 2 shown]
	v_sub_f16_e32 v16, v1, v3
	v_sub_f16_e32 v29, v7, v5
	v_fma_f16 v24, v10, s0, v24
	v_lshrrev_b32_e32 v31, 16, v18
	v_add_f16_e32 v22, v19, v1
	v_add_f16_e32 v16, v16, v29
	v_fma_f16 v24, v12, s1, v24
	v_mul_f16_sdwa v17, v47, v31 dst_sel:DWORD dst_unused:UNUSED_PAD src0_sel:WORD_1 src1_sel:DWORD
	v_add_f16_e32 v22, v22, v3
	v_fma_f16 v14, v16, s2, v14
	v_fma_f16 v16, v16, s2, v24
	v_add_f16_e32 v24, v1, v7
	v_fma_f16 v17, v47, v18, v17
	v_mul_f16_sdwa v18, v47, v18 dst_sel:DWORD dst_unused:UNUSED_PAD src0_sel:WORD_1 src1_sel:DWORD
	v_add_f16_e32 v22, v22, v5
	v_fma_f16 v19, v24, -0.5, v19
	v_fma_f16 v18, v47, v31, -v18
	v_add_f16_e32 v22, v22, v7
	v_fma_f16 v24, v12, s0, v19
	v_sub_f16_e32 v1, v3, v1
	v_sub_f16_e32 v3, v5, v7
	v_fma_f16 v5, v12, s3, v19
	v_add_f16_e32 v7, v13, v15
	v_fma_f16 v24, v10, s4, v24
	v_add_f16_e32 v1, v1, v3
	v_fma_f16 v5, v10, s1, v5
	v_fma_f16 v7, v7, -0.5, v32
	v_sub_f16_e32 v10, v2, v18
	v_fma_f16 v3, v1, s2, v24
	v_fma_f16 v12, v10, s0, v7
	v_sub_f16_e32 v19, v4, v6
	v_sub_f16_e32 v24, v11, v13
	v_sub_f16_e32 v29, v17, v15
	v_fma_f16 v7, v10, s3, v7
	v_fma_f16 v12, v19, s1, v12
	v_add_f16_e32 v24, v24, v29
	v_fma_f16 v7, v19, s4, v7
	v_fma_f16 v12, v24, s2, v12
	;; [unrolled: 1-line block ×3, first 2 shown]
	v_add_f16_e32 v24, v11, v17
	v_fma_f16 v1, v1, s2, v5
	v_add_f16_e32 v5, v32, v11
	v_fma_f16 v24, v24, -0.5, v32
	v_add_f16_e32 v5, v5, v13
	v_fma_f16 v29, v19, s3, v24
	v_fma_f16 v19, v19, s0, v24
	v_add_f16_e32 v24, v4, v6
	v_add_f16_e32 v5, v5, v15
	v_sub_f16_e32 v30, v13, v11
	v_sub_f16_e32 v31, v15, v17
	v_fma_f16 v24, v24, -0.5, v0
	v_sub_f16_e32 v11, v11, v17
	v_add_f16_e32 v5, v5, v17
	v_fma_f16 v29, v10, s1, v29
	v_add_f16_e32 v30, v30, v31
	v_fma_f16 v10, v10, s4, v19
	v_fma_f16 v17, v11, s3, v24
	v_sub_f16_e32 v13, v13, v15
	v_fma_f16 v29, v30, s2, v29
	v_fma_f16 v10, v30, s2, v10
	v_fma_f16 v15, v13, s4, v17
	v_sub_f16_e32 v17, v2, v4
	v_sub_f16_e32 v30, v18, v6
	v_fma_f16 v24, v11, s0, v24
	v_add_f16_e32 v17, v17, v30
	v_fma_f16 v24, v13, s1, v24
	v_fma_f16 v15, v17, s2, v15
	;; [unrolled: 1-line block ×3, first 2 shown]
	v_add_f16_e32 v24, v2, v18
	v_add_f16_e32 v19, v0, v2
	v_fma_f16 v0, v24, -0.5, v0
	v_add_f16_e32 v19, v19, v4
	v_fma_f16 v24, v13, s0, v0
	v_sub_f16_e32 v2, v4, v2
	v_sub_f16_e32 v4, v6, v18
	v_fma_f16 v0, v13, s3, v0
	v_fma_f16 v24, v11, s4, v24
	v_add_f16_e32 v2, v2, v4
	v_fma_f16 v0, v11, s1, v0
	v_add_f16_e32 v19, v19, v6
	v_fma_f16 v4, v2, s2, v24
	v_fma_f16 v0, v2, s2, v0
	v_mul_f16_e32 v6, 0xb8b4, v15
	s_movk_i32 s0, 0x3a79
	v_add_f16_e32 v19, v19, v18
	v_fma_f16 v6, v12, s0, v6
	v_mul_f16_e32 v13, 0xbb9c, v4
	v_mul_f16_e32 v24, 0xbb9c, v0
	s_mov_b32 s0, 0xb4f2
	v_mul_f16_e32 v15, 0x3a79, v15
	v_mul_f16_e32 v4, 0x34f2, v4
	v_add_f16_e32 v2, v20, v5
	v_fma_f16 v13, v29, s2, v13
	v_fma_f16 v24, v10, s0, v24
	v_mul_f16_e32 v31, 0xb8b4, v17
	s_mov_b32 s0, 0xba79
	v_add_f16_e32 v33, v22, v19
	v_fma_f16 v12, v12, s4, v15
	v_fma_f16 v4, v29, s3, v4
	v_mul_f16_e32 v0, 0xb4f2, v0
	v_mul_f16_e32 v17, 0xba79, v17
	v_add_f16_e32 v11, v23, v6
	v_add_f16_e32 v18, v28, v13
	v_fma_f16 v31, v7, s0, v31
	v_add_f16_e32 v15, v14, v12
	v_add_f16_e32 v29, v3, v4
	v_fma_f16 v0, v10, s3, v0
	v_fma_f16 v7, v7, s4, v17
	v_pack_b32_f16 v2, v2, v33
	v_add_f16_e32 v30, v9, v24
	v_add_f16_e32 v32, v21, v31
	;; [unrolled: 1-line block ×4, first 2 shown]
	v_sub_f16_e32 v3, v3, v4
	ds_write_b32 v49, v2
	v_pack_b32_f16 v2, v11, v15
	v_pack_b32_f16 v4, v18, v29
	v_sub_f16_e32 v5, v20, v5
	v_sub_f16_e32 v6, v23, v6
	;; [unrolled: 1-line block ×4, first 2 shown]
	ds_write2_b32 v27, v2, v4 offset0:34 offset1:68
	v_pack_b32_f16 v2, v30, v10
	v_pack_b32_f16 v4, v32, v17
	v_sub_f16_e32 v13, v28, v13
	v_sub_f16_e32 v9, v9, v24
	;; [unrolled: 1-line block ×3, first 2 shown]
	ds_write2_b32 v27, v2, v4 offset0:102 offset1:136
	v_pack_b32_f16 v2, v5, v19
	v_pack_b32_f16 v4, v6, v12
	v_sub_f16_e32 v20, v21, v31
	v_sub_f16_e32 v1, v16, v7
	ds_write2_b32 v27, v2, v4 offset0:170 offset1:204
	v_pack_b32_f16 v2, v13, v3
	v_pack_b32_f16 v0, v9, v0
	v_add_u32_e32 v3, 0x200, v27
	ds_write2_b32 v3, v2, v0 offset0:110 offset1:144
	v_pack_b32_f16 v0, v20, v1
	ds_write_b32 v27, v0 offset:1224
	s_waitcnt lgkmcnt(0)
	s_barrier
	s_and_b64 exec, exec, vcc
	s_cbranch_execz .LBB0_15
; %bb.14:
	global_load_dword v9, v26, s[6:7]
	v_mad_u64_u32 v[1:2], s[0:1], s10, v8, 0
	v_mad_u64_u32 v[3:4], s[0:1], s8, v25, 0
	ds_read_b32 v10, v49
	s_mov_b32 s14, 0x18181818
	v_mad_u64_u32 v[5:6], s[0:1], s11, v8, v[2:3]
	s_mov_b32 s15, 0x3f681818
	v_mov_b32_e32 v11, s13
	v_mad_u64_u32 v[6:7], s[0:1], s9, v25, v[4:5]
	s_waitcnt lgkmcnt(0)
	v_lshrrev_b32_e32 v7, 16, v10
	v_mov_b32_e32 v2, v5
	v_mov_b32_e32 v4, v6
	v_lshlrev_b64 v[1:2], 2, v[1:2]
	v_lshlrev_b64 v[3:4], 2, v[3:4]
	v_add_co_u32_e32 v1, vcc, s12, v1
	v_addc_co_u32_e32 v2, vcc, v11, v2, vcc
	s_movk_i32 s16, 0x1ff
	v_add_co_u32_e32 v3, vcc, v1, v3
	v_addc_co_u32_e32 v4, vcc, v2, v4, vcc
	s_movk_i32 s10, 0xffe
	v_mov_b32_e32 v0, 0x7c00
	s_movk_i32 s18, 0x40f
	s_mov_b32 s17, 0x8000
	s_mul_hi_u32 s12, s8, 0x50
	s_mul_i32 s11, s8, 0x50
	s_waitcnt vmcnt(0)
	v_mul_f16_sdwa v5, v7, v9 dst_sel:DWORD dst_unused:UNUSED_PAD src0_sel:DWORD src1_sel:WORD_1
	v_fma_f16 v5, v10, v9, v5
	v_mul_f16_sdwa v6, v10, v9 dst_sel:DWORD dst_unused:UNUSED_PAD src0_sel:DWORD src1_sel:WORD_1
	v_cvt_f32_f16_e32 v5, v5
	v_fma_f16 v6, v9, v7, -v6
	v_cvt_f32_f16_e32 v7, v6
	v_cvt_f64_f32_e32 v[5:6], v5
	v_cvt_f64_f32_e32 v[7:8], v7
	v_mul_f64 v[5:6], v[5:6], s[14:15]
	v_mul_f64 v[7:8], v[7:8], s[14:15]
	v_and_or_b32 v5, v6, s16, v5
	v_cmp_ne_u32_e32 vcc, 0, v5
	v_and_or_b32 v7, v8, s16, v7
	v_lshrrev_b32_e32 v9, 8, v6
	v_bfe_u32 v10, v6, 20, 11
	v_cndmask_b32_e64 v5, 0, 1, vcc
	v_cmp_ne_u32_e32 vcc, 0, v7
	v_lshrrev_b32_e32 v11, 8, v8
	v_bfe_u32 v12, v8, 20, 11
	v_sub_u32_e32 v13, 0x3f1, v10
	v_cndmask_b32_e64 v7, 0, 1, vcc
	v_and_or_b32 v5, v9, s10, v5
	v_sub_u32_e32 v14, 0x3f1, v12
	v_med3_i32 v9, v13, 0, 13
	v_and_or_b32 v7, v11, s10, v7
	v_or_b32_e32 v13, 0x1000, v5
	v_add_u32_e32 v10, 0xfffffc10, v10
	v_med3_i32 v11, v14, 0, 13
	v_cmp_ne_u32_e32 vcc, 0, v5
	v_or_b32_e32 v15, 0x1000, v7
	v_lshrrev_b32_e32 v17, v9, v13
	v_add_u32_e32 v12, 0xfffffc10, v12
	v_lshl_or_b32 v14, v10, 12, v5
	v_cndmask_b32_e64 v5, 0, 1, vcc
	v_cmp_ne_u32_e32 vcc, 0, v7
	v_lshrrev_b32_e32 v18, v11, v15
	v_lshlrev_b32_e32 v9, v9, v17
	v_lshl_or_b32 v16, v12, 12, v7
	v_cndmask_b32_e64 v7, 0, 1, vcc
	v_lshlrev_b32_e32 v11, v11, v18
	v_cmp_ne_u32_e32 vcc, v9, v13
	v_cndmask_b32_e64 v9, 0, 1, vcc
	v_cmp_ne_u32_e32 vcc, v11, v15
	v_cndmask_b32_e64 v11, 0, 1, vcc
	v_or_b32_e32 v9, v17, v9
	v_cmp_gt_i32_e32 vcc, 1, v10
	v_cndmask_b32_e32 v9, v14, v9, vcc
	v_or_b32_e32 v11, v18, v11
	v_cmp_gt_i32_e32 vcc, 1, v12
	v_and_b32_e32 v13, 7, v9
	v_cndmask_b32_e32 v11, v16, v11, vcc
	v_cmp_lt_i32_e32 vcc, 5, v13
	v_cmp_eq_u32_e64 s[0:1], 3, v13
	v_lshrrev_b32_e32 v9, 2, v9
	v_and_b32_e32 v14, 7, v11
	s_or_b64 vcc, s[0:1], vcc
	v_cmp_lt_i32_e64 s[2:3], 5, v14
	v_cmp_eq_u32_e64 s[4:5], 3, v14
	v_addc_co_u32_e32 v9, vcc, 0, v9, vcc
	v_lshrrev_b32_e32 v11, 2, v11
	s_or_b64 vcc, s[4:5], s[2:3]
	v_addc_co_u32_e32 v11, vcc, 0, v11, vcc
	v_cmp_gt_i32_e32 vcc, 31, v10
	v_cndmask_b32_e32 v9, v0, v9, vcc
	v_cmp_gt_i32_e32 vcc, 31, v12
	v_lshl_or_b32 v5, v5, 9, v0
	v_cndmask_b32_e32 v11, v0, v11, vcc
	v_cmp_eq_u32_e32 vcc, s18, v10
	v_lshrrev_b32_e32 v6, 16, v6
	v_lshl_or_b32 v7, v7, 9, v0
	v_cndmask_b32_e32 v5, v9, v5, vcc
	v_cmp_eq_u32_e32 vcc, s18, v12
	v_lshrrev_b32_e32 v8, 16, v8
	v_cndmask_b32_e32 v7, v11, v7, vcc
	v_and_or_b32 v5, v6, s17, v5
	v_and_or_b32 v6, v8, s17, v7
	v_and_b32_e32 v5, 0xffff, v5
	v_lshl_or_b32 v5, v6, 16, v5
	global_store_dword v[3:4], v5, off
	global_load_dword v7, v26, s[6:7] offset:80
	ds_read2_b32 v[5:6], v27 offset0:20 offset1:40
	s_mul_i32 s0, s9, 0x50
	s_add_i32 s12, s12, s0
	v_add_co_u32_e32 v3, vcc, s11, v3
	s_waitcnt lgkmcnt(0)
	v_lshrrev_b32_e32 v8, 16, v5
	s_waitcnt vmcnt(0)
	v_mul_f16_sdwa v9, v8, v7 dst_sel:DWORD dst_unused:UNUSED_PAD src0_sel:DWORD src1_sel:WORD_1
	v_fma_f16 v9, v5, v7, v9
	v_mul_f16_sdwa v5, v5, v7 dst_sel:DWORD dst_unused:UNUSED_PAD src0_sel:DWORD src1_sel:WORD_1
	v_cvt_f32_f16_e32 v9, v9
	v_fma_f16 v5, v7, v8, -v5
	v_cvt_f32_f16_e32 v5, v5
	v_cvt_f64_f32_e32 v[7:8], v9
	v_cvt_f64_f32_e32 v[9:10], v5
	v_mov_b32_e32 v5, s12
	v_mul_f64 v[7:8], v[7:8], s[14:15]
	v_addc_co_u32_e32 v4, vcc, v4, v5, vcc
	v_mul_f64 v[9:10], v[9:10], s[14:15]
	v_and_or_b32 v5, v8, s16, v7
	v_cmp_ne_u32_e32 vcc, 0, v5
	v_lshrrev_b32_e32 v7, 8, v8
	v_and_or_b32 v9, v10, s16, v9
	v_bfe_u32 v11, v8, 20, 11
	v_cndmask_b32_e64 v5, 0, 1, vcc
	v_cmp_ne_u32_e32 vcc, 0, v9
	v_lshrrev_b32_e32 v12, 8, v10
	v_bfe_u32 v13, v10, 20, 11
	v_sub_u32_e32 v14, 0x3f1, v11
	v_cndmask_b32_e64 v9, 0, 1, vcc
	v_and_or_b32 v5, v7, s10, v5
	v_sub_u32_e32 v15, 0x3f1, v13
	v_med3_i32 v7, v14, 0, 13
	v_and_or_b32 v9, v12, s10, v9
	v_or_b32_e32 v14, 0x1000, v5
	v_add_u32_e32 v11, 0xfffffc10, v11
	v_med3_i32 v12, v15, 0, 13
	v_cmp_ne_u32_e32 vcc, 0, v5
	v_or_b32_e32 v16, 0x1000, v9
	v_lshrrev_b32_e32 v18, v7, v14
	v_add_u32_e32 v13, 0xfffffc10, v13
	v_lshl_or_b32 v15, v11, 12, v5
	v_cndmask_b32_e64 v5, 0, 1, vcc
	v_cmp_ne_u32_e32 vcc, 0, v9
	v_lshrrev_b32_e32 v19, v12, v16
	v_lshlrev_b32_e32 v7, v7, v18
	v_lshl_or_b32 v17, v13, 12, v9
	v_cndmask_b32_e64 v9, 0, 1, vcc
	v_lshlrev_b32_e32 v12, v12, v19
	v_cmp_ne_u32_e32 vcc, v7, v14
	v_cndmask_b32_e64 v7, 0, 1, vcc
	v_cmp_ne_u32_e32 vcc, v12, v16
	v_cndmask_b32_e64 v12, 0, 1, vcc
	v_or_b32_e32 v7, v18, v7
	v_cmp_gt_i32_e32 vcc, 1, v11
	v_cndmask_b32_e32 v7, v15, v7, vcc
	v_or_b32_e32 v12, v19, v12
	v_cmp_gt_i32_e32 vcc, 1, v13
	v_and_b32_e32 v14, 7, v7
	v_cndmask_b32_e32 v12, v17, v12, vcc
	v_cmp_lt_i32_e32 vcc, 5, v14
	v_cmp_eq_u32_e64 s[0:1], 3, v14
	v_lshrrev_b32_e32 v7, 2, v7
	v_and_b32_e32 v15, 7, v12
	s_or_b64 vcc, s[0:1], vcc
	v_cmp_lt_i32_e64 s[2:3], 5, v15
	v_cmp_eq_u32_e64 s[4:5], 3, v15
	v_addc_co_u32_e32 v7, vcc, 0, v7, vcc
	v_lshrrev_b32_e32 v12, 2, v12
	s_or_b64 vcc, s[4:5], s[2:3]
	v_addc_co_u32_e32 v12, vcc, 0, v12, vcc
	v_cmp_gt_i32_e32 vcc, 31, v11
	v_cndmask_b32_e32 v7, v0, v7, vcc
	v_cmp_gt_i32_e32 vcc, 31, v13
	v_lshl_or_b32 v5, v5, 9, v0
	v_cndmask_b32_e32 v12, v0, v12, vcc
	v_cmp_eq_u32_e32 vcc, s18, v11
	v_lshrrev_b32_e32 v8, 16, v8
	v_lshl_or_b32 v9, v9, 9, v0
	v_cndmask_b32_e32 v5, v7, v5, vcc
	v_cmp_eq_u32_e32 vcc, s18, v13
	v_lshrrev_b32_e32 v10, 16, v10
	v_cndmask_b32_e32 v7, v12, v9, vcc
	v_and_or_b32 v5, v8, s17, v5
	v_and_or_b32 v7, v10, s17, v7
	v_and_b32_e32 v5, 0xffff, v5
	v_lshl_or_b32 v5, v7, 16, v5
	global_store_dword v[3:4], v5, off
	global_load_dword v5, v26, s[6:7] offset:160
	v_lshrrev_b32_e32 v7, 16, v6
	v_mov_b32_e32 v9, s12
	v_add_co_u32_e32 v3, vcc, s11, v3
	v_addc_co_u32_e32 v4, vcc, v4, v9, vcc
	s_waitcnt vmcnt(0)
	v_mul_f16_sdwa v8, v7, v5 dst_sel:DWORD dst_unused:UNUSED_PAD src0_sel:DWORD src1_sel:WORD_1
	v_fma_f16 v8, v6, v5, v8
	v_mul_f16_sdwa v6, v6, v5 dst_sel:DWORD dst_unused:UNUSED_PAD src0_sel:DWORD src1_sel:WORD_1
	v_cvt_f32_f16_e32 v8, v8
	v_fma_f16 v5, v5, v7, -v6
	v_cvt_f32_f16_e32 v7, v5
	v_cvt_f64_f32_e32 v[5:6], v8
	v_cvt_f64_f32_e32 v[7:8], v7
	v_mul_f64 v[5:6], v[5:6], s[14:15]
	v_mul_f64 v[7:8], v[7:8], s[14:15]
	v_and_or_b32 v5, v6, s16, v5
	v_cmp_ne_u32_e32 vcc, 0, v5
	v_and_or_b32 v7, v8, s16, v7
	v_lshrrev_b32_e32 v9, 8, v6
	v_bfe_u32 v10, v6, 20, 11
	v_cndmask_b32_e64 v5, 0, 1, vcc
	v_cmp_ne_u32_e32 vcc, 0, v7
	v_lshrrev_b32_e32 v11, 8, v8
	v_bfe_u32 v12, v8, 20, 11
	v_sub_u32_e32 v13, 0x3f1, v10
	v_cndmask_b32_e64 v7, 0, 1, vcc
	v_and_or_b32 v5, v9, s10, v5
	v_sub_u32_e32 v14, 0x3f1, v12
	v_med3_i32 v9, v13, 0, 13
	v_and_or_b32 v7, v11, s10, v7
	v_or_b32_e32 v13, 0x1000, v5
	v_add_u32_e32 v10, 0xfffffc10, v10
	v_med3_i32 v11, v14, 0, 13
	v_cmp_ne_u32_e32 vcc, 0, v5
	v_or_b32_e32 v15, 0x1000, v7
	v_lshrrev_b32_e32 v17, v9, v13
	v_add_u32_e32 v12, 0xfffffc10, v12
	v_lshl_or_b32 v14, v10, 12, v5
	v_cndmask_b32_e64 v5, 0, 1, vcc
	v_cmp_ne_u32_e32 vcc, 0, v7
	v_lshrrev_b32_e32 v18, v11, v15
	v_lshlrev_b32_e32 v9, v9, v17
	v_lshl_or_b32 v16, v12, 12, v7
	v_cndmask_b32_e64 v7, 0, 1, vcc
	v_lshlrev_b32_e32 v11, v11, v18
	v_cmp_ne_u32_e32 vcc, v9, v13
	v_cndmask_b32_e64 v9, 0, 1, vcc
	v_cmp_ne_u32_e32 vcc, v11, v15
	v_cndmask_b32_e64 v11, 0, 1, vcc
	v_or_b32_e32 v9, v17, v9
	v_cmp_gt_i32_e32 vcc, 1, v10
	v_cndmask_b32_e32 v9, v14, v9, vcc
	v_or_b32_e32 v11, v18, v11
	v_cmp_gt_i32_e32 vcc, 1, v12
	v_and_b32_e32 v13, 7, v9
	v_cndmask_b32_e32 v11, v16, v11, vcc
	v_cmp_lt_i32_e32 vcc, 5, v13
	v_cmp_eq_u32_e64 s[0:1], 3, v13
	v_lshrrev_b32_e32 v9, 2, v9
	v_and_b32_e32 v14, 7, v11
	s_or_b64 vcc, s[0:1], vcc
	v_cmp_lt_i32_e64 s[2:3], 5, v14
	v_cmp_eq_u32_e64 s[4:5], 3, v14
	v_addc_co_u32_e32 v9, vcc, 0, v9, vcc
	v_lshrrev_b32_e32 v11, 2, v11
	s_or_b64 vcc, s[4:5], s[2:3]
	v_addc_co_u32_e32 v11, vcc, 0, v11, vcc
	v_cmp_gt_i32_e32 vcc, 31, v10
	v_cndmask_b32_e32 v9, v0, v9, vcc
	v_cmp_gt_i32_e32 vcc, 31, v12
	v_lshl_or_b32 v5, v5, 9, v0
	v_cndmask_b32_e32 v11, v0, v11, vcc
	v_cmp_eq_u32_e32 vcc, s18, v10
	v_lshrrev_b32_e32 v6, 16, v6
	v_lshl_or_b32 v7, v7, 9, v0
	v_cndmask_b32_e32 v5, v9, v5, vcc
	v_cmp_eq_u32_e32 vcc, s18, v12
	v_lshrrev_b32_e32 v8, 16, v8
	v_cndmask_b32_e32 v7, v11, v7, vcc
	v_and_or_b32 v5, v6, s17, v5
	v_and_or_b32 v6, v8, s17, v7
	v_and_b32_e32 v5, 0xffff, v5
	v_lshl_or_b32 v5, v6, 16, v5
	global_store_dword v[3:4], v5, off
	global_load_dword v7, v26, s[6:7] offset:240
	ds_read2_b32 v[5:6], v27 offset0:60 offset1:80
	v_add_co_u32_e32 v3, vcc, s11, v3
	s_waitcnt lgkmcnt(0)
	v_lshrrev_b32_e32 v8, 16, v5
	s_waitcnt vmcnt(0)
	v_mul_f16_sdwa v9, v8, v7 dst_sel:DWORD dst_unused:UNUSED_PAD src0_sel:DWORD src1_sel:WORD_1
	v_fma_f16 v9, v5, v7, v9
	v_mul_f16_sdwa v5, v5, v7 dst_sel:DWORD dst_unused:UNUSED_PAD src0_sel:DWORD src1_sel:WORD_1
	v_cvt_f32_f16_e32 v9, v9
	v_fma_f16 v5, v7, v8, -v5
	v_cvt_f32_f16_e32 v5, v5
	v_cvt_f64_f32_e32 v[7:8], v9
	v_cvt_f64_f32_e32 v[9:10], v5
	v_mov_b32_e32 v5, s12
	v_mul_f64 v[7:8], v[7:8], s[14:15]
	v_addc_co_u32_e32 v4, vcc, v4, v5, vcc
	v_mul_f64 v[9:10], v[9:10], s[14:15]
	v_and_or_b32 v5, v8, s16, v7
	v_cmp_ne_u32_e32 vcc, 0, v5
	v_lshrrev_b32_e32 v7, 8, v8
	v_and_or_b32 v9, v10, s16, v9
	v_bfe_u32 v11, v8, 20, 11
	v_cndmask_b32_e64 v5, 0, 1, vcc
	v_cmp_ne_u32_e32 vcc, 0, v9
	v_lshrrev_b32_e32 v12, 8, v10
	v_bfe_u32 v13, v10, 20, 11
	v_sub_u32_e32 v14, 0x3f1, v11
	v_cndmask_b32_e64 v9, 0, 1, vcc
	v_and_or_b32 v5, v7, s10, v5
	v_sub_u32_e32 v15, 0x3f1, v13
	v_med3_i32 v7, v14, 0, 13
	v_and_or_b32 v9, v12, s10, v9
	v_or_b32_e32 v14, 0x1000, v5
	v_add_u32_e32 v11, 0xfffffc10, v11
	v_med3_i32 v12, v15, 0, 13
	v_cmp_ne_u32_e32 vcc, 0, v5
	v_or_b32_e32 v16, 0x1000, v9
	v_lshrrev_b32_e32 v18, v7, v14
	v_add_u32_e32 v13, 0xfffffc10, v13
	v_lshl_or_b32 v15, v11, 12, v5
	v_cndmask_b32_e64 v5, 0, 1, vcc
	v_cmp_ne_u32_e32 vcc, 0, v9
	v_lshrrev_b32_e32 v19, v12, v16
	v_lshlrev_b32_e32 v7, v7, v18
	v_lshl_or_b32 v17, v13, 12, v9
	v_cndmask_b32_e64 v9, 0, 1, vcc
	v_lshlrev_b32_e32 v12, v12, v19
	v_cmp_ne_u32_e32 vcc, v7, v14
	v_cndmask_b32_e64 v7, 0, 1, vcc
	v_cmp_ne_u32_e32 vcc, v12, v16
	v_cndmask_b32_e64 v12, 0, 1, vcc
	v_or_b32_e32 v7, v18, v7
	v_cmp_gt_i32_e32 vcc, 1, v11
	v_cndmask_b32_e32 v7, v15, v7, vcc
	v_or_b32_e32 v12, v19, v12
	v_cmp_gt_i32_e32 vcc, 1, v13
	v_and_b32_e32 v14, 7, v7
	v_cndmask_b32_e32 v12, v17, v12, vcc
	v_cmp_lt_i32_e32 vcc, 5, v14
	v_cmp_eq_u32_e64 s[0:1], 3, v14
	v_lshrrev_b32_e32 v7, 2, v7
	v_and_b32_e32 v15, 7, v12
	s_or_b64 vcc, s[0:1], vcc
	v_cmp_lt_i32_e64 s[2:3], 5, v15
	v_cmp_eq_u32_e64 s[4:5], 3, v15
	v_addc_co_u32_e32 v7, vcc, 0, v7, vcc
	v_lshrrev_b32_e32 v12, 2, v12
	s_or_b64 vcc, s[4:5], s[2:3]
	v_addc_co_u32_e32 v12, vcc, 0, v12, vcc
	v_cmp_gt_i32_e32 vcc, 31, v11
	v_cndmask_b32_e32 v7, v0, v7, vcc
	v_cmp_gt_i32_e32 vcc, 31, v13
	v_lshl_or_b32 v5, v5, 9, v0
	v_cndmask_b32_e32 v12, v0, v12, vcc
	v_cmp_eq_u32_e32 vcc, s18, v11
	v_lshrrev_b32_e32 v8, 16, v8
	v_lshl_or_b32 v9, v9, 9, v0
	v_cndmask_b32_e32 v5, v7, v5, vcc
	v_cmp_eq_u32_e32 vcc, s18, v13
	v_lshrrev_b32_e32 v10, 16, v10
	v_cndmask_b32_e32 v7, v12, v9, vcc
	v_and_or_b32 v5, v8, s17, v5
	v_and_or_b32 v7, v10, s17, v7
	v_and_b32_e32 v5, 0xffff, v5
	v_lshl_or_b32 v5, v7, 16, v5
	global_store_dword v[3:4], v5, off
	global_load_dword v5, v26, s[6:7] offset:320
	v_lshrrev_b32_e32 v7, 16, v6
	v_mov_b32_e32 v9, s12
	v_add_co_u32_e32 v3, vcc, s11, v3
	v_addc_co_u32_e32 v4, vcc, v4, v9, vcc
	s_waitcnt vmcnt(0)
	v_mul_f16_sdwa v8, v7, v5 dst_sel:DWORD dst_unused:UNUSED_PAD src0_sel:DWORD src1_sel:WORD_1
	v_fma_f16 v8, v6, v5, v8
	v_mul_f16_sdwa v6, v6, v5 dst_sel:DWORD dst_unused:UNUSED_PAD src0_sel:DWORD src1_sel:WORD_1
	v_cvt_f32_f16_e32 v8, v8
	v_fma_f16 v5, v5, v7, -v6
	v_cvt_f32_f16_e32 v7, v5
	v_cvt_f64_f32_e32 v[5:6], v8
	v_cvt_f64_f32_e32 v[7:8], v7
	v_mul_f64 v[5:6], v[5:6], s[14:15]
	v_mul_f64 v[7:8], v[7:8], s[14:15]
	v_and_or_b32 v5, v6, s16, v5
	v_cmp_ne_u32_e32 vcc, 0, v5
	v_and_or_b32 v7, v8, s16, v7
	v_lshrrev_b32_e32 v9, 8, v6
	v_bfe_u32 v10, v6, 20, 11
	v_cndmask_b32_e64 v5, 0, 1, vcc
	v_cmp_ne_u32_e32 vcc, 0, v7
	v_lshrrev_b32_e32 v11, 8, v8
	v_bfe_u32 v12, v8, 20, 11
	v_sub_u32_e32 v13, 0x3f1, v10
	v_cndmask_b32_e64 v7, 0, 1, vcc
	v_and_or_b32 v5, v9, s10, v5
	v_sub_u32_e32 v14, 0x3f1, v12
	v_med3_i32 v9, v13, 0, 13
	v_and_or_b32 v7, v11, s10, v7
	v_or_b32_e32 v13, 0x1000, v5
	v_add_u32_e32 v10, 0xfffffc10, v10
	v_med3_i32 v11, v14, 0, 13
	v_cmp_ne_u32_e32 vcc, 0, v5
	v_or_b32_e32 v15, 0x1000, v7
	v_lshrrev_b32_e32 v17, v9, v13
	v_add_u32_e32 v12, 0xfffffc10, v12
	v_lshl_or_b32 v14, v10, 12, v5
	v_cndmask_b32_e64 v5, 0, 1, vcc
	v_cmp_ne_u32_e32 vcc, 0, v7
	v_lshrrev_b32_e32 v18, v11, v15
	v_lshlrev_b32_e32 v9, v9, v17
	v_lshl_or_b32 v16, v12, 12, v7
	v_cndmask_b32_e64 v7, 0, 1, vcc
	v_lshlrev_b32_e32 v11, v11, v18
	v_cmp_ne_u32_e32 vcc, v9, v13
	v_cndmask_b32_e64 v9, 0, 1, vcc
	v_cmp_ne_u32_e32 vcc, v11, v15
	v_cndmask_b32_e64 v11, 0, 1, vcc
	v_or_b32_e32 v9, v17, v9
	v_cmp_gt_i32_e32 vcc, 1, v10
	v_cndmask_b32_e32 v9, v14, v9, vcc
	v_or_b32_e32 v11, v18, v11
	v_cmp_gt_i32_e32 vcc, 1, v12
	v_and_b32_e32 v13, 7, v9
	v_cndmask_b32_e32 v11, v16, v11, vcc
	v_cmp_lt_i32_e32 vcc, 5, v13
	v_cmp_eq_u32_e64 s[0:1], 3, v13
	v_lshrrev_b32_e32 v9, 2, v9
	v_and_b32_e32 v14, 7, v11
	s_or_b64 vcc, s[0:1], vcc
	v_cmp_lt_i32_e64 s[2:3], 5, v14
	v_cmp_eq_u32_e64 s[4:5], 3, v14
	v_addc_co_u32_e32 v9, vcc, 0, v9, vcc
	v_lshrrev_b32_e32 v11, 2, v11
	s_or_b64 vcc, s[4:5], s[2:3]
	v_addc_co_u32_e32 v11, vcc, 0, v11, vcc
	v_cmp_gt_i32_e32 vcc, 31, v10
	v_cndmask_b32_e32 v9, v0, v9, vcc
	v_cmp_gt_i32_e32 vcc, 31, v12
	v_lshl_or_b32 v5, v5, 9, v0
	v_cndmask_b32_e32 v11, v0, v11, vcc
	v_cmp_eq_u32_e32 vcc, s18, v10
	v_lshrrev_b32_e32 v6, 16, v6
	v_lshl_or_b32 v7, v7, 9, v0
	v_cndmask_b32_e32 v5, v9, v5, vcc
	v_cmp_eq_u32_e32 vcc, s18, v12
	v_lshrrev_b32_e32 v8, 16, v8
	v_cndmask_b32_e32 v7, v11, v7, vcc
	v_and_or_b32 v5, v6, s17, v5
	v_and_or_b32 v6, v8, s17, v7
	v_and_b32_e32 v5, 0xffff, v5
	v_lshl_or_b32 v5, v6, 16, v5
	global_store_dword v[3:4], v5, off
	global_load_dword v7, v26, s[6:7] offset:400
	ds_read2_b32 v[5:6], v27 offset0:100 offset1:120
	v_add_co_u32_e32 v3, vcc, s11, v3
	s_waitcnt lgkmcnt(0)
	v_lshrrev_b32_e32 v8, 16, v5
	s_waitcnt vmcnt(0)
	v_mul_f16_sdwa v9, v8, v7 dst_sel:DWORD dst_unused:UNUSED_PAD src0_sel:DWORD src1_sel:WORD_1
	v_fma_f16 v9, v5, v7, v9
	v_mul_f16_sdwa v5, v5, v7 dst_sel:DWORD dst_unused:UNUSED_PAD src0_sel:DWORD src1_sel:WORD_1
	v_cvt_f32_f16_e32 v9, v9
	v_fma_f16 v5, v7, v8, -v5
	v_cvt_f32_f16_e32 v5, v5
	v_cvt_f64_f32_e32 v[7:8], v9
	v_cvt_f64_f32_e32 v[9:10], v5
	v_mov_b32_e32 v5, s12
	v_mul_f64 v[7:8], v[7:8], s[14:15]
	v_addc_co_u32_e32 v4, vcc, v4, v5, vcc
	v_mul_f64 v[9:10], v[9:10], s[14:15]
	v_and_or_b32 v5, v8, s16, v7
	v_cmp_ne_u32_e32 vcc, 0, v5
	v_lshrrev_b32_e32 v7, 8, v8
	v_and_or_b32 v9, v10, s16, v9
	v_bfe_u32 v11, v8, 20, 11
	v_cndmask_b32_e64 v5, 0, 1, vcc
	v_cmp_ne_u32_e32 vcc, 0, v9
	v_lshrrev_b32_e32 v12, 8, v10
	v_bfe_u32 v13, v10, 20, 11
	v_sub_u32_e32 v14, 0x3f1, v11
	v_cndmask_b32_e64 v9, 0, 1, vcc
	v_and_or_b32 v5, v7, s10, v5
	v_sub_u32_e32 v15, 0x3f1, v13
	v_med3_i32 v7, v14, 0, 13
	v_and_or_b32 v9, v12, s10, v9
	v_or_b32_e32 v14, 0x1000, v5
	v_add_u32_e32 v11, 0xfffffc10, v11
	v_med3_i32 v12, v15, 0, 13
	v_cmp_ne_u32_e32 vcc, 0, v5
	v_or_b32_e32 v16, 0x1000, v9
	v_lshrrev_b32_e32 v18, v7, v14
	v_add_u32_e32 v13, 0xfffffc10, v13
	v_lshl_or_b32 v15, v11, 12, v5
	v_cndmask_b32_e64 v5, 0, 1, vcc
	v_cmp_ne_u32_e32 vcc, 0, v9
	v_lshrrev_b32_e32 v19, v12, v16
	v_lshlrev_b32_e32 v7, v7, v18
	v_lshl_or_b32 v17, v13, 12, v9
	v_cndmask_b32_e64 v9, 0, 1, vcc
	v_lshlrev_b32_e32 v12, v12, v19
	v_cmp_ne_u32_e32 vcc, v7, v14
	v_cndmask_b32_e64 v7, 0, 1, vcc
	v_cmp_ne_u32_e32 vcc, v12, v16
	v_cndmask_b32_e64 v12, 0, 1, vcc
	v_or_b32_e32 v7, v18, v7
	v_cmp_gt_i32_e32 vcc, 1, v11
	v_cndmask_b32_e32 v7, v15, v7, vcc
	v_or_b32_e32 v12, v19, v12
	v_cmp_gt_i32_e32 vcc, 1, v13
	v_and_b32_e32 v14, 7, v7
	v_cndmask_b32_e32 v12, v17, v12, vcc
	v_cmp_lt_i32_e32 vcc, 5, v14
	v_cmp_eq_u32_e64 s[0:1], 3, v14
	v_lshrrev_b32_e32 v7, 2, v7
	v_and_b32_e32 v15, 7, v12
	s_or_b64 vcc, s[0:1], vcc
	v_cmp_lt_i32_e64 s[2:3], 5, v15
	v_cmp_eq_u32_e64 s[4:5], 3, v15
	v_addc_co_u32_e32 v7, vcc, 0, v7, vcc
	v_lshrrev_b32_e32 v12, 2, v12
	s_or_b64 vcc, s[4:5], s[2:3]
	v_addc_co_u32_e32 v12, vcc, 0, v12, vcc
	v_cmp_gt_i32_e32 vcc, 31, v11
	v_cndmask_b32_e32 v7, v0, v7, vcc
	v_cmp_gt_i32_e32 vcc, 31, v13
	v_lshl_or_b32 v5, v5, 9, v0
	v_cndmask_b32_e32 v12, v0, v12, vcc
	v_cmp_eq_u32_e32 vcc, s18, v11
	v_lshrrev_b32_e32 v8, 16, v8
	v_lshl_or_b32 v9, v9, 9, v0
	v_cndmask_b32_e32 v5, v7, v5, vcc
	v_cmp_eq_u32_e32 vcc, s18, v13
	v_lshrrev_b32_e32 v10, 16, v10
	v_cndmask_b32_e32 v7, v12, v9, vcc
	v_and_or_b32 v5, v8, s17, v5
	v_and_or_b32 v7, v10, s17, v7
	v_and_b32_e32 v5, 0xffff, v5
	v_lshl_or_b32 v5, v7, 16, v5
	global_store_dword v[3:4], v5, off
	global_load_dword v5, v26, s[6:7] offset:480
	v_lshrrev_b32_e32 v7, 16, v6
	v_mov_b32_e32 v9, s12
	v_add_co_u32_e32 v3, vcc, s11, v3
	v_addc_co_u32_e32 v4, vcc, v4, v9, vcc
	s_waitcnt vmcnt(0)
	v_mul_f16_sdwa v8, v7, v5 dst_sel:DWORD dst_unused:UNUSED_PAD src0_sel:DWORD src1_sel:WORD_1
	v_fma_f16 v8, v6, v5, v8
	v_mul_f16_sdwa v6, v6, v5 dst_sel:DWORD dst_unused:UNUSED_PAD src0_sel:DWORD src1_sel:WORD_1
	v_cvt_f32_f16_e32 v8, v8
	v_fma_f16 v5, v5, v7, -v6
	v_cvt_f32_f16_e32 v7, v5
	v_cvt_f64_f32_e32 v[5:6], v8
	v_cvt_f64_f32_e32 v[7:8], v7
	v_mul_f64 v[5:6], v[5:6], s[14:15]
	v_mul_f64 v[7:8], v[7:8], s[14:15]
	v_and_or_b32 v5, v6, s16, v5
	v_cmp_ne_u32_e32 vcc, 0, v5
	v_and_or_b32 v7, v8, s16, v7
	v_lshrrev_b32_e32 v9, 8, v6
	v_bfe_u32 v10, v6, 20, 11
	v_cndmask_b32_e64 v5, 0, 1, vcc
	v_cmp_ne_u32_e32 vcc, 0, v7
	v_lshrrev_b32_e32 v11, 8, v8
	v_bfe_u32 v12, v8, 20, 11
	v_sub_u32_e32 v13, 0x3f1, v10
	v_cndmask_b32_e64 v7, 0, 1, vcc
	v_and_or_b32 v5, v9, s10, v5
	v_sub_u32_e32 v14, 0x3f1, v12
	v_med3_i32 v9, v13, 0, 13
	v_and_or_b32 v7, v11, s10, v7
	v_or_b32_e32 v13, 0x1000, v5
	v_add_u32_e32 v10, 0xfffffc10, v10
	v_med3_i32 v11, v14, 0, 13
	v_cmp_ne_u32_e32 vcc, 0, v5
	v_or_b32_e32 v15, 0x1000, v7
	v_lshrrev_b32_e32 v17, v9, v13
	v_add_u32_e32 v12, 0xfffffc10, v12
	v_lshl_or_b32 v14, v10, 12, v5
	v_cndmask_b32_e64 v5, 0, 1, vcc
	v_cmp_ne_u32_e32 vcc, 0, v7
	v_lshrrev_b32_e32 v18, v11, v15
	v_lshlrev_b32_e32 v9, v9, v17
	v_lshl_or_b32 v16, v12, 12, v7
	v_cndmask_b32_e64 v7, 0, 1, vcc
	v_lshlrev_b32_e32 v11, v11, v18
	v_cmp_ne_u32_e32 vcc, v9, v13
	v_cndmask_b32_e64 v9, 0, 1, vcc
	v_cmp_ne_u32_e32 vcc, v11, v15
	v_cndmask_b32_e64 v11, 0, 1, vcc
	v_or_b32_e32 v9, v17, v9
	v_cmp_gt_i32_e32 vcc, 1, v10
	v_cndmask_b32_e32 v9, v14, v9, vcc
	v_or_b32_e32 v11, v18, v11
	v_cmp_gt_i32_e32 vcc, 1, v12
	v_and_b32_e32 v13, 7, v9
	v_cndmask_b32_e32 v11, v16, v11, vcc
	v_cmp_lt_i32_e32 vcc, 5, v13
	v_cmp_eq_u32_e64 s[0:1], 3, v13
	v_lshrrev_b32_e32 v9, 2, v9
	v_and_b32_e32 v14, 7, v11
	s_or_b64 vcc, s[0:1], vcc
	v_cmp_lt_i32_e64 s[2:3], 5, v14
	v_cmp_eq_u32_e64 s[4:5], 3, v14
	v_addc_co_u32_e32 v9, vcc, 0, v9, vcc
	v_lshrrev_b32_e32 v11, 2, v11
	s_or_b64 vcc, s[4:5], s[2:3]
	v_addc_co_u32_e32 v11, vcc, 0, v11, vcc
	v_cmp_gt_i32_e32 vcc, 31, v10
	v_cndmask_b32_e32 v9, v0, v9, vcc
	v_cmp_gt_i32_e32 vcc, 31, v12
	v_lshl_or_b32 v5, v5, 9, v0
	v_cndmask_b32_e32 v11, v0, v11, vcc
	v_cmp_eq_u32_e32 vcc, s18, v10
	v_lshrrev_b32_e32 v6, 16, v6
	v_lshl_or_b32 v7, v7, 9, v0
	v_cndmask_b32_e32 v5, v9, v5, vcc
	v_cmp_eq_u32_e32 vcc, s18, v12
	v_lshrrev_b32_e32 v8, 16, v8
	v_cndmask_b32_e32 v7, v11, v7, vcc
	v_and_or_b32 v5, v6, s17, v5
	v_and_or_b32 v6, v8, s17, v7
	v_and_b32_e32 v5, 0xffff, v5
	v_lshl_or_b32 v5, v6, 16, v5
	global_store_dword v[3:4], v5, off
	global_load_dword v7, v26, s[6:7] offset:560
	ds_read2_b32 v[5:6], v27 offset0:140 offset1:160
	v_add_co_u32_e32 v3, vcc, s11, v3
	s_waitcnt lgkmcnt(0)
	v_lshrrev_b32_e32 v8, 16, v5
	s_waitcnt vmcnt(0)
	v_mul_f16_sdwa v9, v8, v7 dst_sel:DWORD dst_unused:UNUSED_PAD src0_sel:DWORD src1_sel:WORD_1
	v_fma_f16 v9, v5, v7, v9
	v_mul_f16_sdwa v5, v5, v7 dst_sel:DWORD dst_unused:UNUSED_PAD src0_sel:DWORD src1_sel:WORD_1
	v_cvt_f32_f16_e32 v9, v9
	v_fma_f16 v5, v7, v8, -v5
	v_cvt_f32_f16_e32 v5, v5
	v_cvt_f64_f32_e32 v[7:8], v9
	v_cvt_f64_f32_e32 v[9:10], v5
	v_mov_b32_e32 v5, s12
	v_mul_f64 v[7:8], v[7:8], s[14:15]
	v_addc_co_u32_e32 v4, vcc, v4, v5, vcc
	v_mul_f64 v[9:10], v[9:10], s[14:15]
	v_and_or_b32 v5, v8, s16, v7
	v_cmp_ne_u32_e32 vcc, 0, v5
	v_lshrrev_b32_e32 v7, 8, v8
	v_and_or_b32 v9, v10, s16, v9
	v_bfe_u32 v11, v8, 20, 11
	v_cndmask_b32_e64 v5, 0, 1, vcc
	v_cmp_ne_u32_e32 vcc, 0, v9
	v_lshrrev_b32_e32 v12, 8, v10
	v_bfe_u32 v13, v10, 20, 11
	v_sub_u32_e32 v14, 0x3f1, v11
	v_cndmask_b32_e64 v9, 0, 1, vcc
	v_and_or_b32 v5, v7, s10, v5
	v_sub_u32_e32 v15, 0x3f1, v13
	v_med3_i32 v7, v14, 0, 13
	v_and_or_b32 v9, v12, s10, v9
	v_or_b32_e32 v14, 0x1000, v5
	v_add_u32_e32 v11, 0xfffffc10, v11
	v_med3_i32 v12, v15, 0, 13
	v_cmp_ne_u32_e32 vcc, 0, v5
	v_or_b32_e32 v16, 0x1000, v9
	v_lshrrev_b32_e32 v18, v7, v14
	v_add_u32_e32 v13, 0xfffffc10, v13
	v_lshl_or_b32 v15, v11, 12, v5
	v_cndmask_b32_e64 v5, 0, 1, vcc
	v_cmp_ne_u32_e32 vcc, 0, v9
	v_lshrrev_b32_e32 v19, v12, v16
	v_lshlrev_b32_e32 v7, v7, v18
	v_lshl_or_b32 v17, v13, 12, v9
	v_cndmask_b32_e64 v9, 0, 1, vcc
	v_lshlrev_b32_e32 v12, v12, v19
	v_cmp_ne_u32_e32 vcc, v7, v14
	v_cndmask_b32_e64 v7, 0, 1, vcc
	v_cmp_ne_u32_e32 vcc, v12, v16
	v_cndmask_b32_e64 v12, 0, 1, vcc
	v_or_b32_e32 v7, v18, v7
	v_cmp_gt_i32_e32 vcc, 1, v11
	v_cndmask_b32_e32 v7, v15, v7, vcc
	v_or_b32_e32 v12, v19, v12
	v_cmp_gt_i32_e32 vcc, 1, v13
	v_and_b32_e32 v14, 7, v7
	v_cndmask_b32_e32 v12, v17, v12, vcc
	v_cmp_lt_i32_e32 vcc, 5, v14
	v_cmp_eq_u32_e64 s[0:1], 3, v14
	v_lshrrev_b32_e32 v7, 2, v7
	v_and_b32_e32 v15, 7, v12
	s_or_b64 vcc, s[0:1], vcc
	v_cmp_lt_i32_e64 s[2:3], 5, v15
	v_cmp_eq_u32_e64 s[4:5], 3, v15
	v_addc_co_u32_e32 v7, vcc, 0, v7, vcc
	v_lshrrev_b32_e32 v12, 2, v12
	s_or_b64 vcc, s[4:5], s[2:3]
	v_addc_co_u32_e32 v12, vcc, 0, v12, vcc
	v_cmp_gt_i32_e32 vcc, 31, v11
	v_cndmask_b32_e32 v7, v0, v7, vcc
	v_cmp_gt_i32_e32 vcc, 31, v13
	v_lshl_or_b32 v5, v5, 9, v0
	v_cndmask_b32_e32 v12, v0, v12, vcc
	v_cmp_eq_u32_e32 vcc, s18, v11
	v_lshrrev_b32_e32 v8, 16, v8
	v_lshl_or_b32 v9, v9, 9, v0
	v_cndmask_b32_e32 v5, v7, v5, vcc
	v_cmp_eq_u32_e32 vcc, s18, v13
	v_lshrrev_b32_e32 v10, 16, v10
	v_cndmask_b32_e32 v7, v12, v9, vcc
	v_and_or_b32 v5, v8, s17, v5
	v_and_or_b32 v7, v10, s17, v7
	v_and_b32_e32 v5, 0xffff, v5
	v_lshl_or_b32 v5, v7, 16, v5
	global_store_dword v[3:4], v5, off
	global_load_dword v9, v26, s[6:7] offset:640
	v_or_b32_e32 v10, 0xa0, v25
	v_mad_u64_u32 v[7:8], s[0:1], s8, v10, 0
	v_lshrrev_b32_e32 v11, 16, v6
	v_mov_b32_e32 v5, v8
	s_waitcnt vmcnt(0)
	v_mul_f16_sdwa v8, v11, v9 dst_sel:DWORD dst_unused:UNUSED_PAD src0_sel:DWORD src1_sel:WORD_1
	v_fma_f16 v8, v6, v9, v8
	v_mul_f16_sdwa v6, v6, v9 dst_sel:DWORD dst_unused:UNUSED_PAD src0_sel:DWORD src1_sel:WORD_1
	v_cvt_f32_f16_e32 v8, v8
	v_fma_f16 v6, v9, v11, -v6
	v_cvt_f32_f16_e32 v11, v6
	v_mad_u64_u32 v[5:6], s[0:1], s9, v10, v[5:6]
	v_cvt_f64_f32_e32 v[8:9], v8
	v_cvt_f64_f32_e32 v[10:11], v11
	v_mul_f64 v[12:13], v[8:9], s[14:15]
	v_mov_b32_e32 v8, v5
	v_lshlrev_b64 v[5:6], 2, v[7:8]
	v_mul_f64 v[7:8], v[10:11], s[14:15]
	v_add_co_u32_e32 v5, vcc, v1, v5
	v_addc_co_u32_e32 v6, vcc, v2, v6, vcc
	v_and_or_b32 v9, v13, s16, v12
	v_cmp_ne_u32_e32 vcc, 0, v9
	v_lshrrev_b32_e32 v10, 8, v13
	v_and_or_b32 v7, v8, s16, v7
	v_bfe_u32 v11, v13, 20, 11
	v_cndmask_b32_e64 v9, 0, 1, vcc
	v_cmp_ne_u32_e32 vcc, 0, v7
	v_lshrrev_b32_e32 v12, 16, v13
	v_lshrrev_b32_e32 v13, 8, v8
	v_bfe_u32 v14, v8, 20, 11
	v_sub_u32_e32 v15, 0x3f1, v11
	v_cndmask_b32_e64 v7, 0, 1, vcc
	v_and_or_b32 v9, v10, s10, v9
	v_sub_u32_e32 v16, 0x3f1, v14
	v_med3_i32 v10, v15, 0, 13
	v_and_or_b32 v7, v13, s10, v7
	v_or_b32_e32 v15, 0x1000, v9
	v_add_u32_e32 v11, 0xfffffc10, v11
	v_med3_i32 v13, v16, 0, 13
	v_cmp_ne_u32_e32 vcc, 0, v9
	v_or_b32_e32 v17, 0x1000, v7
	v_lshrrev_b32_e32 v19, v10, v15
	v_add_u32_e32 v14, 0xfffffc10, v14
	v_lshl_or_b32 v16, v11, 12, v9
	v_cndmask_b32_e64 v9, 0, 1, vcc
	v_cmp_ne_u32_e32 vcc, 0, v7
	v_lshrrev_b32_e32 v20, v13, v17
	v_lshlrev_b32_e32 v10, v10, v19
	v_lshl_or_b32 v18, v14, 12, v7
	v_cndmask_b32_e64 v7, 0, 1, vcc
	v_lshlrev_b32_e32 v13, v13, v20
	v_cmp_ne_u32_e32 vcc, v10, v15
	v_cndmask_b32_e64 v10, 0, 1, vcc
	v_cmp_ne_u32_e32 vcc, v13, v17
	v_cndmask_b32_e64 v13, 0, 1, vcc
	v_or_b32_e32 v10, v19, v10
	v_cmp_gt_i32_e32 vcc, 1, v11
	v_cndmask_b32_e32 v10, v16, v10, vcc
	v_or_b32_e32 v13, v20, v13
	v_cmp_gt_i32_e32 vcc, 1, v14
	v_and_b32_e32 v15, 7, v10
	v_cndmask_b32_e32 v13, v18, v13, vcc
	v_cmp_lt_i32_e32 vcc, 5, v15
	v_cmp_eq_u32_e64 s[0:1], 3, v15
	v_lshrrev_b32_e32 v10, 2, v10
	v_and_b32_e32 v16, 7, v13
	s_or_b64 vcc, s[0:1], vcc
	v_cmp_lt_i32_e64 s[2:3], 5, v16
	v_cmp_eq_u32_e64 s[4:5], 3, v16
	v_addc_co_u32_e32 v10, vcc, 0, v10, vcc
	v_lshrrev_b32_e32 v13, 2, v13
	s_or_b64 vcc, s[4:5], s[2:3]
	v_addc_co_u32_e32 v13, vcc, 0, v13, vcc
	v_cmp_gt_i32_e32 vcc, 31, v11
	v_cndmask_b32_e32 v10, v0, v10, vcc
	v_cmp_gt_i32_e32 vcc, 31, v14
	v_lshl_or_b32 v9, v9, 9, v0
	v_cndmask_b32_e32 v13, v0, v13, vcc
	v_cmp_eq_u32_e32 vcc, s18, v11
	v_lshl_or_b32 v7, v7, 9, v0
	v_cndmask_b32_e32 v9, v10, v9, vcc
	v_cmp_eq_u32_e32 vcc, s18, v14
	v_lshrrev_b32_e32 v8, 16, v8
	v_cndmask_b32_e32 v7, v13, v7, vcc
	v_and_or_b32 v9, v12, s17, v9
	v_and_or_b32 v7, v8, s17, v7
	v_and_b32_e32 v8, 0xffff, v9
	v_lshl_or_b32 v7, v7, 16, v8
	global_store_dword v[5:6], v7, off
	global_load_dword v7, v26, s[6:7] offset:720
	ds_read2_b32 v[5:6], v27 offset0:180 offset1:200
	s_waitcnt lgkmcnt(0)
	v_lshrrev_b32_e32 v8, 16, v5
	s_waitcnt vmcnt(0)
	v_mul_f16_sdwa v9, v8, v7 dst_sel:DWORD dst_unused:UNUSED_PAD src0_sel:DWORD src1_sel:WORD_1
	v_fma_f16 v9, v5, v7, v9
	v_mul_f16_sdwa v5, v5, v7 dst_sel:DWORD dst_unused:UNUSED_PAD src0_sel:DWORD src1_sel:WORD_1
	v_cvt_f32_f16_e32 v9, v9
	v_fma_f16 v5, v7, v8, -v5
	v_cvt_f32_f16_e32 v5, v5
	v_cvt_f64_f32_e32 v[7:8], v9
	v_cvt_f64_f32_e32 v[9:10], v5
	v_mov_b32_e32 v5, 0xa0
	v_mul_f64 v[7:8], v[7:8], s[14:15]
	v_mad_u64_u32 v[3:4], s[0:1], s8, v5, v[3:4]
	v_mul_f64 v[9:10], v[9:10], s[14:15]
	s_mul_i32 s0, s9, 0xa0
	v_add_u32_e32 v4, s0, v4
	v_and_or_b32 v5, v8, s16, v7
	v_cmp_ne_u32_e32 vcc, 0, v5
	v_lshrrev_b32_e32 v7, 8, v8
	v_and_or_b32 v9, v10, s16, v9
	v_bfe_u32 v11, v8, 20, 11
	v_cndmask_b32_e64 v5, 0, 1, vcc
	v_cmp_ne_u32_e32 vcc, 0, v9
	v_lshrrev_b32_e32 v12, 8, v10
	v_bfe_u32 v13, v10, 20, 11
	v_sub_u32_e32 v14, 0x3f1, v11
	v_cndmask_b32_e64 v9, 0, 1, vcc
	v_and_or_b32 v5, v7, s10, v5
	v_sub_u32_e32 v15, 0x3f1, v13
	v_med3_i32 v7, v14, 0, 13
	v_and_or_b32 v9, v12, s10, v9
	v_or_b32_e32 v14, 0x1000, v5
	v_add_u32_e32 v11, 0xfffffc10, v11
	v_med3_i32 v12, v15, 0, 13
	v_cmp_ne_u32_e32 vcc, 0, v5
	v_or_b32_e32 v16, 0x1000, v9
	v_lshrrev_b32_e32 v18, v7, v14
	v_add_u32_e32 v13, 0xfffffc10, v13
	v_lshl_or_b32 v15, v11, 12, v5
	v_cndmask_b32_e64 v5, 0, 1, vcc
	v_cmp_ne_u32_e32 vcc, 0, v9
	v_lshrrev_b32_e32 v19, v12, v16
	v_lshlrev_b32_e32 v7, v7, v18
	v_lshl_or_b32 v17, v13, 12, v9
	v_cndmask_b32_e64 v9, 0, 1, vcc
	v_lshlrev_b32_e32 v12, v12, v19
	v_cmp_ne_u32_e32 vcc, v7, v14
	v_cndmask_b32_e64 v7, 0, 1, vcc
	v_cmp_ne_u32_e32 vcc, v12, v16
	v_cndmask_b32_e64 v12, 0, 1, vcc
	v_or_b32_e32 v7, v18, v7
	v_cmp_gt_i32_e32 vcc, 1, v11
	v_cndmask_b32_e32 v7, v15, v7, vcc
	v_or_b32_e32 v12, v19, v12
	v_cmp_gt_i32_e32 vcc, 1, v13
	v_and_b32_e32 v14, 7, v7
	v_cndmask_b32_e32 v12, v17, v12, vcc
	v_cmp_lt_i32_e32 vcc, 5, v14
	v_cmp_eq_u32_e64 s[0:1], 3, v14
	v_lshrrev_b32_e32 v7, 2, v7
	v_and_b32_e32 v15, 7, v12
	s_or_b64 vcc, s[0:1], vcc
	v_cmp_lt_i32_e64 s[2:3], 5, v15
	v_cmp_eq_u32_e64 s[4:5], 3, v15
	v_addc_co_u32_e32 v7, vcc, 0, v7, vcc
	v_lshrrev_b32_e32 v12, 2, v12
	s_or_b64 vcc, s[4:5], s[2:3]
	v_addc_co_u32_e32 v12, vcc, 0, v12, vcc
	v_cmp_gt_i32_e32 vcc, 31, v11
	v_cndmask_b32_e32 v7, v0, v7, vcc
	v_cmp_gt_i32_e32 vcc, 31, v13
	v_lshl_or_b32 v5, v5, 9, v0
	v_cndmask_b32_e32 v12, v0, v12, vcc
	v_cmp_eq_u32_e32 vcc, s18, v11
	v_lshrrev_b32_e32 v8, 16, v8
	v_lshl_or_b32 v9, v9, 9, v0
	v_cndmask_b32_e32 v5, v7, v5, vcc
	v_cmp_eq_u32_e32 vcc, s18, v13
	v_lshrrev_b32_e32 v10, 16, v10
	v_cndmask_b32_e32 v7, v12, v9, vcc
	v_and_or_b32 v5, v8, s17, v5
	v_and_or_b32 v7, v10, s17, v7
	v_and_b32_e32 v5, 0xffff, v5
	v_lshl_or_b32 v5, v7, 16, v5
	global_store_dword v[3:4], v5, off
	global_load_dword v5, v26, s[6:7] offset:800
	v_lshrrev_b32_e32 v7, 16, v6
	v_mov_b32_e32 v9, s12
	v_add_co_u32_e32 v3, vcc, s11, v3
	v_addc_co_u32_e32 v4, vcc, v4, v9, vcc
	s_waitcnt vmcnt(0)
	v_mul_f16_sdwa v8, v7, v5 dst_sel:DWORD dst_unused:UNUSED_PAD src0_sel:DWORD src1_sel:WORD_1
	v_fma_f16 v8, v6, v5, v8
	v_mul_f16_sdwa v6, v6, v5 dst_sel:DWORD dst_unused:UNUSED_PAD src0_sel:DWORD src1_sel:WORD_1
	v_cvt_f32_f16_e32 v8, v8
	v_fma_f16 v5, v5, v7, -v6
	v_cvt_f32_f16_e32 v7, v5
	v_cvt_f64_f32_e32 v[5:6], v8
	v_cvt_f64_f32_e32 v[7:8], v7
	v_mul_f64 v[5:6], v[5:6], s[14:15]
	v_mul_f64 v[7:8], v[7:8], s[14:15]
	v_and_or_b32 v5, v6, s16, v5
	v_cmp_ne_u32_e32 vcc, 0, v5
	v_and_or_b32 v7, v8, s16, v7
	v_lshrrev_b32_e32 v9, 8, v6
	v_bfe_u32 v10, v6, 20, 11
	v_cndmask_b32_e64 v5, 0, 1, vcc
	v_cmp_ne_u32_e32 vcc, 0, v7
	v_lshrrev_b32_e32 v11, 8, v8
	v_bfe_u32 v12, v8, 20, 11
	v_sub_u32_e32 v13, 0x3f1, v10
	v_cndmask_b32_e64 v7, 0, 1, vcc
	v_and_or_b32 v5, v9, s10, v5
	v_sub_u32_e32 v14, 0x3f1, v12
	v_med3_i32 v9, v13, 0, 13
	v_and_or_b32 v7, v11, s10, v7
	v_or_b32_e32 v13, 0x1000, v5
	v_add_u32_e32 v10, 0xfffffc10, v10
	v_med3_i32 v11, v14, 0, 13
	v_cmp_ne_u32_e32 vcc, 0, v5
	v_or_b32_e32 v15, 0x1000, v7
	v_lshrrev_b32_e32 v17, v9, v13
	v_add_u32_e32 v12, 0xfffffc10, v12
	v_lshl_or_b32 v14, v10, 12, v5
	v_cndmask_b32_e64 v5, 0, 1, vcc
	v_cmp_ne_u32_e32 vcc, 0, v7
	v_lshrrev_b32_e32 v18, v11, v15
	v_lshlrev_b32_e32 v9, v9, v17
	v_lshl_or_b32 v16, v12, 12, v7
	v_cndmask_b32_e64 v7, 0, 1, vcc
	v_lshlrev_b32_e32 v11, v11, v18
	v_cmp_ne_u32_e32 vcc, v9, v13
	v_cndmask_b32_e64 v9, 0, 1, vcc
	v_cmp_ne_u32_e32 vcc, v11, v15
	v_cndmask_b32_e64 v11, 0, 1, vcc
	v_or_b32_e32 v9, v17, v9
	v_cmp_gt_i32_e32 vcc, 1, v10
	v_cndmask_b32_e32 v9, v14, v9, vcc
	v_or_b32_e32 v11, v18, v11
	v_cmp_gt_i32_e32 vcc, 1, v12
	v_and_b32_e32 v13, 7, v9
	v_cndmask_b32_e32 v11, v16, v11, vcc
	v_cmp_lt_i32_e32 vcc, 5, v13
	v_cmp_eq_u32_e64 s[0:1], 3, v13
	v_lshrrev_b32_e32 v9, 2, v9
	v_and_b32_e32 v14, 7, v11
	s_or_b64 vcc, s[0:1], vcc
	v_cmp_lt_i32_e64 s[2:3], 5, v14
	v_cmp_eq_u32_e64 s[4:5], 3, v14
	v_addc_co_u32_e32 v9, vcc, 0, v9, vcc
	v_lshrrev_b32_e32 v11, 2, v11
	s_or_b64 vcc, s[4:5], s[2:3]
	v_addc_co_u32_e32 v11, vcc, 0, v11, vcc
	v_cmp_gt_i32_e32 vcc, 31, v10
	v_cndmask_b32_e32 v9, v0, v9, vcc
	v_cmp_gt_i32_e32 vcc, 31, v12
	v_lshl_or_b32 v5, v5, 9, v0
	v_cndmask_b32_e32 v11, v0, v11, vcc
	v_cmp_eq_u32_e32 vcc, s18, v10
	v_lshrrev_b32_e32 v6, 16, v6
	v_lshl_or_b32 v7, v7, 9, v0
	v_cndmask_b32_e32 v5, v9, v5, vcc
	v_cmp_eq_u32_e32 vcc, s18, v12
	v_lshrrev_b32_e32 v8, 16, v8
	v_cndmask_b32_e32 v7, v11, v7, vcc
	v_and_or_b32 v5, v6, s17, v5
	v_and_or_b32 v6, v8, s17, v7
	v_and_b32_e32 v5, 0xffff, v5
	v_lshl_or_b32 v5, v6, 16, v5
	global_store_dword v[3:4], v5, off
	global_load_dword v7, v26, s[6:7] offset:880
	ds_read2_b32 v[5:6], v27 offset0:220 offset1:240
	v_add_co_u32_e32 v3, vcc, s11, v3
	s_waitcnt lgkmcnt(0)
	v_lshrrev_b32_e32 v8, 16, v5
	s_waitcnt vmcnt(0)
	v_mul_f16_sdwa v9, v8, v7 dst_sel:DWORD dst_unused:UNUSED_PAD src0_sel:DWORD src1_sel:WORD_1
	v_fma_f16 v9, v5, v7, v9
	v_mul_f16_sdwa v5, v5, v7 dst_sel:DWORD dst_unused:UNUSED_PAD src0_sel:DWORD src1_sel:WORD_1
	v_cvt_f32_f16_e32 v9, v9
	v_fma_f16 v5, v7, v8, -v5
	v_cvt_f32_f16_e32 v5, v5
	v_cvt_f64_f32_e32 v[7:8], v9
	v_cvt_f64_f32_e32 v[9:10], v5
	v_mov_b32_e32 v5, s12
	v_mul_f64 v[7:8], v[7:8], s[14:15]
	v_addc_co_u32_e32 v4, vcc, v4, v5, vcc
	v_mul_f64 v[9:10], v[9:10], s[14:15]
	v_and_or_b32 v5, v8, s16, v7
	v_cmp_ne_u32_e32 vcc, 0, v5
	v_lshrrev_b32_e32 v7, 8, v8
	v_and_or_b32 v9, v10, s16, v9
	v_bfe_u32 v11, v8, 20, 11
	v_cndmask_b32_e64 v5, 0, 1, vcc
	v_cmp_ne_u32_e32 vcc, 0, v9
	v_lshrrev_b32_e32 v12, 8, v10
	v_bfe_u32 v13, v10, 20, 11
	v_sub_u32_e32 v14, 0x3f1, v11
	v_cndmask_b32_e64 v9, 0, 1, vcc
	v_and_or_b32 v5, v7, s10, v5
	v_sub_u32_e32 v15, 0x3f1, v13
	v_med3_i32 v7, v14, 0, 13
	v_and_or_b32 v9, v12, s10, v9
	v_or_b32_e32 v14, 0x1000, v5
	v_add_u32_e32 v11, 0xfffffc10, v11
	v_med3_i32 v12, v15, 0, 13
	v_cmp_ne_u32_e32 vcc, 0, v5
	v_or_b32_e32 v16, 0x1000, v9
	v_lshrrev_b32_e32 v18, v7, v14
	v_add_u32_e32 v13, 0xfffffc10, v13
	v_lshl_or_b32 v15, v11, 12, v5
	v_cndmask_b32_e64 v5, 0, 1, vcc
	v_cmp_ne_u32_e32 vcc, 0, v9
	v_lshrrev_b32_e32 v19, v12, v16
	v_lshlrev_b32_e32 v7, v7, v18
	v_lshl_or_b32 v17, v13, 12, v9
	v_cndmask_b32_e64 v9, 0, 1, vcc
	v_lshlrev_b32_e32 v12, v12, v19
	v_cmp_ne_u32_e32 vcc, v7, v14
	v_cndmask_b32_e64 v7, 0, 1, vcc
	v_cmp_ne_u32_e32 vcc, v12, v16
	v_cndmask_b32_e64 v12, 0, 1, vcc
	v_or_b32_e32 v7, v18, v7
	v_cmp_gt_i32_e32 vcc, 1, v11
	v_cndmask_b32_e32 v7, v15, v7, vcc
	v_or_b32_e32 v12, v19, v12
	v_cmp_gt_i32_e32 vcc, 1, v13
	v_and_b32_e32 v14, 7, v7
	v_cndmask_b32_e32 v12, v17, v12, vcc
	v_cmp_lt_i32_e32 vcc, 5, v14
	v_cmp_eq_u32_e64 s[0:1], 3, v14
	v_lshrrev_b32_e32 v7, 2, v7
	v_and_b32_e32 v15, 7, v12
	s_or_b64 vcc, s[0:1], vcc
	v_cmp_lt_i32_e64 s[2:3], 5, v15
	v_cmp_eq_u32_e64 s[4:5], 3, v15
	v_addc_co_u32_e32 v7, vcc, 0, v7, vcc
	v_lshrrev_b32_e32 v12, 2, v12
	s_or_b64 vcc, s[4:5], s[2:3]
	v_addc_co_u32_e32 v12, vcc, 0, v12, vcc
	v_cmp_gt_i32_e32 vcc, 31, v11
	v_cndmask_b32_e32 v7, v0, v7, vcc
	v_cmp_gt_i32_e32 vcc, 31, v13
	v_lshl_or_b32 v5, v5, 9, v0
	v_cndmask_b32_e32 v12, v0, v12, vcc
	v_cmp_eq_u32_e32 vcc, s18, v11
	v_lshrrev_b32_e32 v8, 16, v8
	v_lshl_or_b32 v9, v9, 9, v0
	v_cndmask_b32_e32 v5, v7, v5, vcc
	v_cmp_eq_u32_e32 vcc, s18, v13
	v_lshrrev_b32_e32 v10, 16, v10
	v_cndmask_b32_e32 v7, v12, v9, vcc
	v_and_or_b32 v5, v8, s17, v5
	v_and_or_b32 v7, v10, s17, v7
	v_and_b32_e32 v5, 0xffff, v5
	v_lshl_or_b32 v5, v7, 16, v5
	global_store_dword v[3:4], v5, off
	global_load_dword v5, v26, s[6:7] offset:960
	v_lshrrev_b32_e32 v7, 16, v6
	v_mov_b32_e32 v9, s12
	v_add_co_u32_e32 v3, vcc, s11, v3
	v_addc_co_u32_e32 v4, vcc, v4, v9, vcc
	s_waitcnt vmcnt(0)
	v_mul_f16_sdwa v8, v7, v5 dst_sel:DWORD dst_unused:UNUSED_PAD src0_sel:DWORD src1_sel:WORD_1
	v_fma_f16 v8, v6, v5, v8
	v_mul_f16_sdwa v6, v6, v5 dst_sel:DWORD dst_unused:UNUSED_PAD src0_sel:DWORD src1_sel:WORD_1
	v_cvt_f32_f16_e32 v8, v8
	v_fma_f16 v5, v5, v7, -v6
	v_cvt_f32_f16_e32 v7, v5
	v_cvt_f64_f32_e32 v[5:6], v8
	v_cvt_f64_f32_e32 v[7:8], v7
	v_mul_f64 v[5:6], v[5:6], s[14:15]
	v_mul_f64 v[7:8], v[7:8], s[14:15]
	v_and_or_b32 v5, v6, s16, v5
	v_cmp_ne_u32_e32 vcc, 0, v5
	v_and_or_b32 v7, v8, s16, v7
	v_lshrrev_b32_e32 v9, 8, v6
	v_bfe_u32 v10, v6, 20, 11
	v_cndmask_b32_e64 v5, 0, 1, vcc
	v_cmp_ne_u32_e32 vcc, 0, v7
	v_lshrrev_b32_e32 v11, 8, v8
	v_bfe_u32 v12, v8, 20, 11
	v_sub_u32_e32 v13, 0x3f1, v10
	v_cndmask_b32_e64 v7, 0, 1, vcc
	v_and_or_b32 v5, v9, s10, v5
	v_sub_u32_e32 v14, 0x3f1, v12
	v_med3_i32 v9, v13, 0, 13
	v_and_or_b32 v7, v11, s10, v7
	v_or_b32_e32 v13, 0x1000, v5
	v_add_u32_e32 v10, 0xfffffc10, v10
	v_med3_i32 v11, v14, 0, 13
	v_cmp_ne_u32_e32 vcc, 0, v5
	v_or_b32_e32 v15, 0x1000, v7
	v_lshrrev_b32_e32 v17, v9, v13
	v_add_u32_e32 v12, 0xfffffc10, v12
	v_lshl_or_b32 v14, v10, 12, v5
	v_cndmask_b32_e64 v5, 0, 1, vcc
	v_cmp_ne_u32_e32 vcc, 0, v7
	v_lshrrev_b32_e32 v18, v11, v15
	v_lshlrev_b32_e32 v9, v9, v17
	v_lshl_or_b32 v16, v12, 12, v7
	v_cndmask_b32_e64 v7, 0, 1, vcc
	v_lshlrev_b32_e32 v11, v11, v18
	v_cmp_ne_u32_e32 vcc, v9, v13
	v_cndmask_b32_e64 v9, 0, 1, vcc
	v_cmp_ne_u32_e32 vcc, v11, v15
	v_cndmask_b32_e64 v11, 0, 1, vcc
	v_or_b32_e32 v9, v17, v9
	v_cmp_gt_i32_e32 vcc, 1, v10
	v_cndmask_b32_e32 v9, v14, v9, vcc
	v_or_b32_e32 v11, v18, v11
	v_cmp_gt_i32_e32 vcc, 1, v12
	v_and_b32_e32 v13, 7, v9
	v_cndmask_b32_e32 v11, v16, v11, vcc
	v_cmp_lt_i32_e32 vcc, 5, v13
	v_cmp_eq_u32_e64 s[0:1], 3, v13
	v_lshrrev_b32_e32 v9, 2, v9
	v_and_b32_e32 v14, 7, v11
	s_or_b64 vcc, s[0:1], vcc
	v_cmp_lt_i32_e64 s[2:3], 5, v14
	v_cmp_eq_u32_e64 s[4:5], 3, v14
	v_addc_co_u32_e32 v9, vcc, 0, v9, vcc
	v_lshrrev_b32_e32 v11, 2, v11
	s_or_b64 vcc, s[4:5], s[2:3]
	v_addc_co_u32_e32 v11, vcc, 0, v11, vcc
	v_cmp_gt_i32_e32 vcc, 31, v10
	v_cndmask_b32_e32 v9, v0, v9, vcc
	v_cmp_gt_i32_e32 vcc, 31, v12
	v_lshl_or_b32 v5, v5, 9, v0
	v_cndmask_b32_e32 v11, v0, v11, vcc
	v_cmp_eq_u32_e32 vcc, s18, v10
	v_lshrrev_b32_e32 v6, 16, v6
	v_lshl_or_b32 v7, v7, 9, v0
	v_cndmask_b32_e32 v5, v9, v5, vcc
	v_cmp_eq_u32_e32 vcc, s18, v12
	v_lshrrev_b32_e32 v8, 16, v8
	v_cndmask_b32_e32 v7, v11, v7, vcc
	v_and_or_b32 v5, v6, s17, v5
	v_and_or_b32 v6, v8, s17, v7
	v_and_b32_e32 v5, 0xffff, v5
	v_lshl_or_b32 v5, v6, 16, v5
	global_store_dword v[3:4], v5, off
	global_load_dword v7, v26, s[6:7] offset:1040
	v_add_u32_e32 v11, 0x400, v27
	ds_read2_b32 v[5:6], v11 offset0:4 offset1:24
	v_add_co_u32_e32 v3, vcc, s11, v3
	s_waitcnt lgkmcnt(0)
	v_lshrrev_b32_e32 v8, 16, v5
	s_waitcnt vmcnt(0)
	v_mul_f16_sdwa v9, v8, v7 dst_sel:DWORD dst_unused:UNUSED_PAD src0_sel:DWORD src1_sel:WORD_1
	v_fma_f16 v9, v5, v7, v9
	v_mul_f16_sdwa v5, v5, v7 dst_sel:DWORD dst_unused:UNUSED_PAD src0_sel:DWORD src1_sel:WORD_1
	v_cvt_f32_f16_e32 v9, v9
	v_fma_f16 v5, v7, v8, -v5
	v_cvt_f32_f16_e32 v5, v5
	v_cvt_f64_f32_e32 v[7:8], v9
	v_cvt_f64_f32_e32 v[9:10], v5
	v_mov_b32_e32 v5, s12
	v_mul_f64 v[7:8], v[7:8], s[14:15]
	v_addc_co_u32_e32 v4, vcc, v4, v5, vcc
	v_mul_f64 v[9:10], v[9:10], s[14:15]
	v_and_or_b32 v5, v8, s16, v7
	v_cmp_ne_u32_e32 vcc, 0, v5
	v_lshrrev_b32_e32 v7, 8, v8
	v_and_or_b32 v9, v10, s16, v9
	v_bfe_u32 v12, v8, 20, 11
	v_cndmask_b32_e64 v5, 0, 1, vcc
	v_cmp_ne_u32_e32 vcc, 0, v9
	v_lshrrev_b32_e32 v13, 8, v10
	v_bfe_u32 v14, v10, 20, 11
	v_sub_u32_e32 v15, 0x3f1, v12
	v_cndmask_b32_e64 v9, 0, 1, vcc
	v_and_or_b32 v5, v7, s10, v5
	v_sub_u32_e32 v16, 0x3f1, v14
	v_med3_i32 v7, v15, 0, 13
	v_and_or_b32 v9, v13, s10, v9
	v_or_b32_e32 v15, 0x1000, v5
	v_add_u32_e32 v12, 0xfffffc10, v12
	v_med3_i32 v13, v16, 0, 13
	v_cmp_ne_u32_e32 vcc, 0, v5
	v_or_b32_e32 v17, 0x1000, v9
	v_lshrrev_b32_e32 v19, v7, v15
	v_add_u32_e32 v14, 0xfffffc10, v14
	v_lshl_or_b32 v16, v12, 12, v5
	v_cndmask_b32_e64 v5, 0, 1, vcc
	v_cmp_ne_u32_e32 vcc, 0, v9
	v_lshrrev_b32_e32 v20, v13, v17
	v_lshlrev_b32_e32 v7, v7, v19
	v_lshl_or_b32 v18, v14, 12, v9
	v_cndmask_b32_e64 v9, 0, 1, vcc
	v_lshlrev_b32_e32 v13, v13, v20
	v_cmp_ne_u32_e32 vcc, v7, v15
	v_cndmask_b32_e64 v7, 0, 1, vcc
	v_cmp_ne_u32_e32 vcc, v13, v17
	v_cndmask_b32_e64 v13, 0, 1, vcc
	v_or_b32_e32 v7, v19, v7
	v_cmp_gt_i32_e32 vcc, 1, v12
	v_cndmask_b32_e32 v7, v16, v7, vcc
	v_or_b32_e32 v13, v20, v13
	v_cmp_gt_i32_e32 vcc, 1, v14
	v_and_b32_e32 v15, 7, v7
	v_cndmask_b32_e32 v13, v18, v13, vcc
	v_cmp_lt_i32_e32 vcc, 5, v15
	v_cmp_eq_u32_e64 s[0:1], 3, v15
	v_lshrrev_b32_e32 v7, 2, v7
	v_and_b32_e32 v16, 7, v13
	s_or_b64 vcc, s[0:1], vcc
	v_cmp_lt_i32_e64 s[2:3], 5, v16
	v_cmp_eq_u32_e64 s[4:5], 3, v16
	v_addc_co_u32_e32 v7, vcc, 0, v7, vcc
	v_lshrrev_b32_e32 v13, 2, v13
	s_or_b64 vcc, s[4:5], s[2:3]
	v_addc_co_u32_e32 v13, vcc, 0, v13, vcc
	v_cmp_gt_i32_e32 vcc, 31, v12
	v_cndmask_b32_e32 v7, v0, v7, vcc
	v_cmp_gt_i32_e32 vcc, 31, v14
	v_lshl_or_b32 v5, v5, 9, v0
	v_cndmask_b32_e32 v13, v0, v13, vcc
	v_cmp_eq_u32_e32 vcc, s18, v12
	v_lshrrev_b32_e32 v8, 16, v8
	v_lshl_or_b32 v9, v9, 9, v0
	v_cndmask_b32_e32 v5, v7, v5, vcc
	v_cmp_eq_u32_e32 vcc, s18, v14
	v_lshrrev_b32_e32 v10, 16, v10
	v_cndmask_b32_e32 v7, v13, v9, vcc
	v_and_or_b32 v5, v8, s17, v5
	v_and_or_b32 v7, v10, s17, v7
	v_and_b32_e32 v5, 0xffff, v5
	v_lshl_or_b32 v5, v7, 16, v5
	global_store_dword v[3:4], v5, off
	global_load_dword v5, v26, s[6:7] offset:1120
	v_lshrrev_b32_e32 v7, 16, v6
	v_mov_b32_e32 v9, s12
	v_add_co_u32_e32 v3, vcc, s11, v3
	v_addc_co_u32_e32 v4, vcc, v4, v9, vcc
	s_waitcnt vmcnt(0)
	v_mul_f16_sdwa v8, v7, v5 dst_sel:DWORD dst_unused:UNUSED_PAD src0_sel:DWORD src1_sel:WORD_1
	v_fma_f16 v8, v6, v5, v8
	v_mul_f16_sdwa v6, v6, v5 dst_sel:DWORD dst_unused:UNUSED_PAD src0_sel:DWORD src1_sel:WORD_1
	v_cvt_f32_f16_e32 v8, v8
	v_fma_f16 v5, v5, v7, -v6
	v_cvt_f32_f16_e32 v7, v5
	v_cvt_f64_f32_e32 v[5:6], v8
	v_cvt_f64_f32_e32 v[7:8], v7
	v_mul_f64 v[5:6], v[5:6], s[14:15]
	v_mul_f64 v[7:8], v[7:8], s[14:15]
	v_and_or_b32 v5, v6, s16, v5
	v_cmp_ne_u32_e32 vcc, 0, v5
	v_and_or_b32 v7, v8, s16, v7
	v_lshrrev_b32_e32 v9, 8, v6
	v_bfe_u32 v10, v6, 20, 11
	v_cndmask_b32_e64 v5, 0, 1, vcc
	v_cmp_ne_u32_e32 vcc, 0, v7
	v_lshrrev_b32_e32 v12, 8, v8
	v_bfe_u32 v13, v8, 20, 11
	v_sub_u32_e32 v14, 0x3f1, v10
	v_cndmask_b32_e64 v7, 0, 1, vcc
	v_and_or_b32 v5, v9, s10, v5
	v_sub_u32_e32 v15, 0x3f1, v13
	v_med3_i32 v9, v14, 0, 13
	v_and_or_b32 v7, v12, s10, v7
	v_or_b32_e32 v14, 0x1000, v5
	v_add_u32_e32 v10, 0xfffffc10, v10
	v_med3_i32 v12, v15, 0, 13
	v_cmp_ne_u32_e32 vcc, 0, v5
	v_or_b32_e32 v16, 0x1000, v7
	v_lshrrev_b32_e32 v18, v9, v14
	v_add_u32_e32 v13, 0xfffffc10, v13
	v_lshl_or_b32 v15, v10, 12, v5
	v_cndmask_b32_e64 v5, 0, 1, vcc
	v_cmp_ne_u32_e32 vcc, 0, v7
	v_lshrrev_b32_e32 v19, v12, v16
	v_lshlrev_b32_e32 v9, v9, v18
	v_lshl_or_b32 v17, v13, 12, v7
	v_cndmask_b32_e64 v7, 0, 1, vcc
	v_lshlrev_b32_e32 v12, v12, v19
	v_cmp_ne_u32_e32 vcc, v9, v14
	v_cndmask_b32_e64 v9, 0, 1, vcc
	v_cmp_ne_u32_e32 vcc, v12, v16
	v_cndmask_b32_e64 v12, 0, 1, vcc
	v_or_b32_e32 v9, v18, v9
	v_cmp_gt_i32_e32 vcc, 1, v10
	v_cndmask_b32_e32 v9, v15, v9, vcc
	v_or_b32_e32 v12, v19, v12
	v_cmp_gt_i32_e32 vcc, 1, v13
	v_and_b32_e32 v14, 7, v9
	v_cndmask_b32_e32 v12, v17, v12, vcc
	v_cmp_lt_i32_e32 vcc, 5, v14
	v_cmp_eq_u32_e64 s[0:1], 3, v14
	v_lshrrev_b32_e32 v9, 2, v9
	v_and_b32_e32 v15, 7, v12
	s_or_b64 vcc, s[0:1], vcc
	v_cmp_lt_i32_e64 s[2:3], 5, v15
	v_cmp_eq_u32_e64 s[4:5], 3, v15
	v_addc_co_u32_e32 v9, vcc, 0, v9, vcc
	v_lshrrev_b32_e32 v12, 2, v12
	s_or_b64 vcc, s[4:5], s[2:3]
	v_addc_co_u32_e32 v12, vcc, 0, v12, vcc
	v_cmp_gt_i32_e32 vcc, 31, v10
	v_cndmask_b32_e32 v9, v0, v9, vcc
	v_cmp_gt_i32_e32 vcc, 31, v13
	v_lshl_or_b32 v5, v5, 9, v0
	v_cndmask_b32_e32 v12, v0, v12, vcc
	v_cmp_eq_u32_e32 vcc, s18, v10
	v_lshrrev_b32_e32 v6, 16, v6
	v_lshl_or_b32 v7, v7, 9, v0
	v_cndmask_b32_e32 v5, v9, v5, vcc
	v_cmp_eq_u32_e32 vcc, s18, v13
	v_lshrrev_b32_e32 v8, 16, v8
	v_cndmask_b32_e32 v7, v12, v7, vcc
	v_and_or_b32 v5, v6, s17, v5
	v_and_or_b32 v6, v8, s17, v7
	v_and_b32_e32 v5, 0xffff, v5
	v_lshl_or_b32 v5, v6, 16, v5
	global_store_dword v[3:4], v5, off
	global_load_dword v7, v26, s[6:7] offset:1200
	ds_read2_b32 v[5:6], v11 offset0:44 offset1:64
	v_add_co_u32_e32 v3, vcc, s11, v3
	s_waitcnt lgkmcnt(0)
	v_lshrrev_b32_e32 v8, 16, v5
	s_waitcnt vmcnt(0)
	v_mul_f16_sdwa v9, v8, v7 dst_sel:DWORD dst_unused:UNUSED_PAD src0_sel:DWORD src1_sel:WORD_1
	v_fma_f16 v9, v5, v7, v9
	v_mul_f16_sdwa v5, v5, v7 dst_sel:DWORD dst_unused:UNUSED_PAD src0_sel:DWORD src1_sel:WORD_1
	v_cvt_f32_f16_e32 v9, v9
	v_fma_f16 v5, v7, v8, -v5
	v_cvt_f32_f16_e32 v5, v5
	v_cvt_f64_f32_e32 v[7:8], v9
	v_cvt_f64_f32_e32 v[9:10], v5
	v_mov_b32_e32 v5, s12
	v_mul_f64 v[7:8], v[7:8], s[14:15]
	v_addc_co_u32_e32 v4, vcc, v4, v5, vcc
	v_mul_f64 v[9:10], v[9:10], s[14:15]
	v_and_or_b32 v5, v8, s16, v7
	v_cmp_ne_u32_e32 vcc, 0, v5
	v_lshrrev_b32_e32 v7, 8, v8
	v_and_or_b32 v9, v10, s16, v9
	v_bfe_u32 v11, v8, 20, 11
	v_cndmask_b32_e64 v5, 0, 1, vcc
	v_cmp_ne_u32_e32 vcc, 0, v9
	v_lshrrev_b32_e32 v12, 8, v10
	v_bfe_u32 v13, v10, 20, 11
	v_sub_u32_e32 v14, 0x3f1, v11
	v_cndmask_b32_e64 v9, 0, 1, vcc
	v_and_or_b32 v5, v7, s10, v5
	v_sub_u32_e32 v15, 0x3f1, v13
	v_med3_i32 v7, v14, 0, 13
	v_and_or_b32 v9, v12, s10, v9
	v_or_b32_e32 v14, 0x1000, v5
	v_add_u32_e32 v11, 0xfffffc10, v11
	v_med3_i32 v12, v15, 0, 13
	v_cmp_ne_u32_e32 vcc, 0, v5
	v_or_b32_e32 v16, 0x1000, v9
	v_lshrrev_b32_e32 v18, v7, v14
	v_add_u32_e32 v13, 0xfffffc10, v13
	v_lshl_or_b32 v15, v11, 12, v5
	v_cndmask_b32_e64 v5, 0, 1, vcc
	v_cmp_ne_u32_e32 vcc, 0, v9
	v_lshrrev_b32_e32 v19, v12, v16
	v_lshlrev_b32_e32 v7, v7, v18
	v_lshl_or_b32 v17, v13, 12, v9
	v_cndmask_b32_e64 v9, 0, 1, vcc
	v_lshlrev_b32_e32 v12, v12, v19
	v_cmp_ne_u32_e32 vcc, v7, v14
	v_cndmask_b32_e64 v7, 0, 1, vcc
	v_cmp_ne_u32_e32 vcc, v12, v16
	v_cndmask_b32_e64 v12, 0, 1, vcc
	v_or_b32_e32 v7, v18, v7
	v_cmp_gt_i32_e32 vcc, 1, v11
	v_cndmask_b32_e32 v7, v15, v7, vcc
	v_or_b32_e32 v12, v19, v12
	v_cmp_gt_i32_e32 vcc, 1, v13
	v_and_b32_e32 v14, 7, v7
	v_cndmask_b32_e32 v12, v17, v12, vcc
	v_cmp_lt_i32_e32 vcc, 5, v14
	v_cmp_eq_u32_e64 s[0:1], 3, v14
	v_lshrrev_b32_e32 v7, 2, v7
	v_and_b32_e32 v15, 7, v12
	s_or_b64 vcc, s[0:1], vcc
	v_cmp_lt_i32_e64 s[2:3], 5, v15
	v_cmp_eq_u32_e64 s[4:5], 3, v15
	v_addc_co_u32_e32 v7, vcc, 0, v7, vcc
	v_lshrrev_b32_e32 v12, 2, v12
	s_or_b64 vcc, s[4:5], s[2:3]
	v_addc_co_u32_e32 v12, vcc, 0, v12, vcc
	v_cmp_gt_i32_e32 vcc, 31, v11
	v_cndmask_b32_e32 v7, v0, v7, vcc
	v_cmp_gt_i32_e32 vcc, 31, v13
	v_lshl_or_b32 v5, v5, 9, v0
	v_cndmask_b32_e32 v12, v0, v12, vcc
	v_cmp_eq_u32_e32 vcc, s18, v11
	v_lshrrev_b32_e32 v8, 16, v8
	v_lshl_or_b32 v9, v9, 9, v0
	v_cndmask_b32_e32 v5, v7, v5, vcc
	v_cmp_eq_u32_e32 vcc, s18, v13
	v_lshrrev_b32_e32 v10, 16, v10
	v_cndmask_b32_e32 v7, v12, v9, vcc
	v_and_or_b32 v5, v8, s17, v5
	v_and_or_b32 v7, v10, s17, v7
	v_and_b32_e32 v5, 0xffff, v5
	v_lshl_or_b32 v5, v7, 16, v5
	global_store_dword v[3:4], v5, off
	global_load_dword v5, v26, s[6:7] offset:1280
	v_lshrrev_b32_e32 v7, 16, v6
	v_or_b32_e32 v9, 0x140, v25
	v_mad_u64_u32 v[3:4], s[0:1], s8, v9, 0
	s_waitcnt vmcnt(0)
	v_mul_f16_sdwa v8, v7, v5 dst_sel:DWORD dst_unused:UNUSED_PAD src0_sel:DWORD src1_sel:WORD_1
	v_fma_f16 v8, v6, v5, v8
	v_cvt_f32_f16_e32 v8, v8
	v_mul_f16_sdwa v6, v6, v5 dst_sel:DWORD dst_unused:UNUSED_PAD src0_sel:DWORD src1_sel:WORD_1
	v_fma_f16 v5, v5, v7, -v6
	v_cvt_f32_f16_e32 v7, v5
	v_cvt_f64_f32_e32 v[5:6], v8
	v_cvt_f64_f32_e32 v[7:8], v7
	v_mul_f64 v[5:6], v[5:6], s[14:15]
	v_mul_f64 v[7:8], v[7:8], s[14:15]
	v_mad_u64_u32 v[9:10], s[0:1], s9, v9, v[4:5]
	v_and_or_b32 v5, v6, s16, v5
	v_and_or_b32 v7, v8, s16, v7
	v_cmp_ne_u32_e32 vcc, 0, v5
	v_mov_b32_e32 v4, v9
	v_lshrrev_b32_e32 v9, 8, v6
	v_bfe_u32 v10, v6, 20, 11
	v_cndmask_b32_e64 v5, 0, 1, vcc
	v_cmp_ne_u32_e32 vcc, 0, v7
	v_lshrrev_b32_e32 v11, 8, v8
	v_bfe_u32 v12, v8, 20, 11
	v_sub_u32_e32 v13, 0x3f1, v10
	v_cndmask_b32_e64 v7, 0, 1, vcc
	v_and_or_b32 v5, v9, s10, v5
	v_sub_u32_e32 v14, 0x3f1, v12
	v_med3_i32 v9, v13, 0, 13
	v_and_or_b32 v7, v11, s10, v7
	v_or_b32_e32 v13, 0x1000, v5
	v_add_u32_e32 v10, 0xfffffc10, v10
	v_med3_i32 v11, v14, 0, 13
	v_cmp_ne_u32_e32 vcc, 0, v5
	v_or_b32_e32 v15, 0x1000, v7
	v_lshrrev_b32_e32 v17, v9, v13
	v_add_u32_e32 v12, 0xfffffc10, v12
	v_lshl_or_b32 v14, v10, 12, v5
	v_cndmask_b32_e64 v5, 0, 1, vcc
	v_cmp_ne_u32_e32 vcc, 0, v7
	v_lshrrev_b32_e32 v18, v11, v15
	v_lshlrev_b32_e32 v9, v9, v17
	v_lshl_or_b32 v16, v12, 12, v7
	v_cndmask_b32_e64 v7, 0, 1, vcc
	v_lshlrev_b32_e32 v11, v11, v18
	v_cmp_ne_u32_e32 vcc, v9, v13
	v_cndmask_b32_e64 v9, 0, 1, vcc
	v_cmp_ne_u32_e32 vcc, v11, v15
	v_cndmask_b32_e64 v11, 0, 1, vcc
	v_or_b32_e32 v9, v17, v9
	v_cmp_gt_i32_e32 vcc, 1, v10
	v_cndmask_b32_e32 v9, v14, v9, vcc
	v_or_b32_e32 v11, v18, v11
	v_cmp_gt_i32_e32 vcc, 1, v12
	v_and_b32_e32 v13, 7, v9
	v_cndmask_b32_e32 v11, v16, v11, vcc
	v_cmp_lt_i32_e32 vcc, 5, v13
	v_cmp_eq_u32_e64 s[0:1], 3, v13
	v_lshrrev_b32_e32 v9, 2, v9
	v_and_b32_e32 v14, 7, v11
	s_or_b64 vcc, s[0:1], vcc
	v_cmp_lt_i32_e64 s[2:3], 5, v14
	v_cmp_eq_u32_e64 s[4:5], 3, v14
	v_addc_co_u32_e32 v9, vcc, 0, v9, vcc
	v_lshrrev_b32_e32 v11, 2, v11
	s_or_b64 vcc, s[4:5], s[2:3]
	v_addc_co_u32_e32 v11, vcc, 0, v11, vcc
	v_cmp_gt_i32_e32 vcc, 31, v10
	v_cndmask_b32_e32 v9, v0, v9, vcc
	v_cmp_gt_i32_e32 vcc, 31, v12
	v_lshl_or_b32 v5, v5, 9, v0
	v_lshl_or_b32 v7, v7, 9, v0
	v_cndmask_b32_e32 v0, v0, v11, vcc
	v_cmp_eq_u32_e32 vcc, s18, v10
	v_lshrrev_b32_e32 v6, 16, v6
	v_cndmask_b32_e32 v5, v9, v5, vcc
	v_cmp_eq_u32_e32 vcc, s18, v12
	v_lshlrev_b64 v[3:4], 2, v[3:4]
	v_lshrrev_b32_e32 v8, 16, v8
	v_cndmask_b32_e32 v0, v0, v7, vcc
	v_and_or_b32 v5, v6, s17, v5
	v_and_or_b32 v0, v8, s17, v0
	v_and_b32_e32 v5, 0xffff, v5
	v_lshl_or_b32 v5, v0, 16, v5
	v_add_co_u32_e32 v0, vcc, v1, v3
	v_addc_co_u32_e32 v1, vcc, v2, v4, vcc
	global_store_dword v[0:1], v5, off
.LBB0_15:
	s_endpgm
	.section	.rodata,"a",@progbits
	.p2align	6, 0x0
	.amdhsa_kernel bluestein_single_fwd_len340_dim1_half_op_CI_CI
		.amdhsa_group_segment_fixed_size 4080
		.amdhsa_private_segment_fixed_size 0
		.amdhsa_kernarg_size 104
		.amdhsa_user_sgpr_count 6
		.amdhsa_user_sgpr_private_segment_buffer 1
		.amdhsa_user_sgpr_dispatch_ptr 0
		.amdhsa_user_sgpr_queue_ptr 0
		.amdhsa_user_sgpr_kernarg_segment_ptr 1
		.amdhsa_user_sgpr_dispatch_id 0
		.amdhsa_user_sgpr_flat_scratch_init 0
		.amdhsa_user_sgpr_private_segment_size 0
		.amdhsa_uses_dynamic_stack 0
		.amdhsa_system_sgpr_private_segment_wavefront_offset 0
		.amdhsa_system_sgpr_workgroup_id_x 1
		.amdhsa_system_sgpr_workgroup_id_y 0
		.amdhsa_system_sgpr_workgroup_id_z 0
		.amdhsa_system_sgpr_workgroup_info 0
		.amdhsa_system_vgpr_workitem_id 0
		.amdhsa_next_free_vgpr 254
		.amdhsa_next_free_sgpr 41
		.amdhsa_reserve_vcc 1
		.amdhsa_reserve_flat_scratch 0
		.amdhsa_float_round_mode_32 0
		.amdhsa_float_round_mode_16_64 0
		.amdhsa_float_denorm_mode_32 3
		.amdhsa_float_denorm_mode_16_64 3
		.amdhsa_dx10_clamp 1
		.amdhsa_ieee_mode 1
		.amdhsa_fp16_overflow 0
		.amdhsa_exception_fp_ieee_invalid_op 0
		.amdhsa_exception_fp_denorm_src 0
		.amdhsa_exception_fp_ieee_div_zero 0
		.amdhsa_exception_fp_ieee_overflow 0
		.amdhsa_exception_fp_ieee_underflow 0
		.amdhsa_exception_fp_ieee_inexact 0
		.amdhsa_exception_int_div_zero 0
	.end_amdhsa_kernel
	.text
.Lfunc_end0:
	.size	bluestein_single_fwd_len340_dim1_half_op_CI_CI, .Lfunc_end0-bluestein_single_fwd_len340_dim1_half_op_CI_CI
                                        ; -- End function
	.section	.AMDGPU.csdata,"",@progbits
; Kernel info:
; codeLenInByte = 26484
; NumSgprs: 45
; NumVgprs: 254
; ScratchSize: 0
; MemoryBound: 0
; FloatMode: 240
; IeeeMode: 1
; LDSByteSize: 4080 bytes/workgroup (compile time only)
; SGPRBlocks: 5
; VGPRBlocks: 63
; NumSGPRsForWavesPerEU: 45
; NumVGPRsForWavesPerEU: 254
; Occupancy: 1
; WaveLimiterHint : 1
; COMPUTE_PGM_RSRC2:SCRATCH_EN: 0
; COMPUTE_PGM_RSRC2:USER_SGPR: 6
; COMPUTE_PGM_RSRC2:TRAP_HANDLER: 0
; COMPUTE_PGM_RSRC2:TGID_X_EN: 1
; COMPUTE_PGM_RSRC2:TGID_Y_EN: 0
; COMPUTE_PGM_RSRC2:TGID_Z_EN: 0
; COMPUTE_PGM_RSRC2:TIDIG_COMP_CNT: 0
	.type	__hip_cuid_b195b0299a1b09f1,@object ; @__hip_cuid_b195b0299a1b09f1
	.section	.bss,"aw",@nobits
	.globl	__hip_cuid_b195b0299a1b09f1
__hip_cuid_b195b0299a1b09f1:
	.byte	0                               ; 0x0
	.size	__hip_cuid_b195b0299a1b09f1, 1

	.ident	"AMD clang version 19.0.0git (https://github.com/RadeonOpenCompute/llvm-project roc-6.4.0 25133 c7fe45cf4b819c5991fe208aaa96edf142730f1d)"
	.section	".note.GNU-stack","",@progbits
	.addrsig
	.addrsig_sym __hip_cuid_b195b0299a1b09f1
	.amdgpu_metadata
---
amdhsa.kernels:
  - .args:
      - .actual_access:  read_only
        .address_space:  global
        .offset:         0
        .size:           8
        .value_kind:     global_buffer
      - .actual_access:  read_only
        .address_space:  global
        .offset:         8
        .size:           8
        .value_kind:     global_buffer
      - .actual_access:  read_only
        .address_space:  global
        .offset:         16
        .size:           8
        .value_kind:     global_buffer
      - .actual_access:  read_only
        .address_space:  global
        .offset:         24
        .size:           8
        .value_kind:     global_buffer
      - .actual_access:  read_only
        .address_space:  global
        .offset:         32
        .size:           8
        .value_kind:     global_buffer
      - .offset:         40
        .size:           8
        .value_kind:     by_value
      - .address_space:  global
        .offset:         48
        .size:           8
        .value_kind:     global_buffer
      - .address_space:  global
        .offset:         56
        .size:           8
        .value_kind:     global_buffer
      - .address_space:  global
        .offset:         64
        .size:           8
        .value_kind:     global_buffer
      - .address_space:  global
        .offset:         72
        .size:           8
        .value_kind:     global_buffer
      - .offset:         80
        .size:           4
        .value_kind:     by_value
      - .address_space:  global
        .offset:         88
        .size:           8
        .value_kind:     global_buffer
      - .address_space:  global
        .offset:         96
        .size:           8
        .value_kind:     global_buffer
    .group_segment_fixed_size: 4080
    .kernarg_segment_align: 8
    .kernarg_segment_size: 104
    .language:       OpenCL C
    .language_version:
      - 2
      - 0
    .max_flat_workgroup_size: 102
    .name:           bluestein_single_fwd_len340_dim1_half_op_CI_CI
    .private_segment_fixed_size: 0
    .sgpr_count:     45
    .sgpr_spill_count: 0
    .symbol:         bluestein_single_fwd_len340_dim1_half_op_CI_CI.kd
    .uniform_work_group_size: 1
    .uses_dynamic_stack: false
    .vgpr_count:     254
    .vgpr_spill_count: 0
    .wavefront_size: 64
amdhsa.target:   amdgcn-amd-amdhsa--gfx906
amdhsa.version:
  - 1
  - 2
...

	.end_amdgpu_metadata
